;; amdgpu-corpus repo=LLNL/RAJAPerf kind=compiled arch=gfx1100 opt=O3
	.text
	.amdgcn_target "amdgcn-amd-amdhsa--gfx1100"
	.amdhsa_code_object_version 6
	.section	.text._ZN7rocprim6detail21init_histogram_kernelINS0_24wrapped_histogram_configINS_14default_configElLj1ELj1EEELj1EyEEvNS0_11fixed_arrayIPT1_XT0_EEENS5_IjXT0_EEE,"axG",@progbits,_ZN7rocprim6detail21init_histogram_kernelINS0_24wrapped_histogram_configINS_14default_configElLj1ELj1EEELj1EyEEvNS0_11fixed_arrayIPT1_XT0_EEENS5_IjXT0_EEE,comdat
	.protected	_ZN7rocprim6detail21init_histogram_kernelINS0_24wrapped_histogram_configINS_14default_configElLj1ELj1EEELj1EyEEvNS0_11fixed_arrayIPT1_XT0_EEENS5_IjXT0_EEE ; -- Begin function _ZN7rocprim6detail21init_histogram_kernelINS0_24wrapped_histogram_configINS_14default_configElLj1ELj1EEELj1EyEEvNS0_11fixed_arrayIPT1_XT0_EEENS5_IjXT0_EEE
	.globl	_ZN7rocprim6detail21init_histogram_kernelINS0_24wrapped_histogram_configINS_14default_configElLj1ELj1EEELj1EyEEvNS0_11fixed_arrayIPT1_XT0_EEENS5_IjXT0_EEE
	.p2align	8
	.type	_ZN7rocprim6detail21init_histogram_kernelINS0_24wrapped_histogram_configINS_14default_configElLj1ELj1EEELj1EyEEvNS0_11fixed_arrayIPT1_XT0_EEENS5_IjXT0_EEE,@function
_ZN7rocprim6detail21init_histogram_kernelINS0_24wrapped_histogram_configINS_14default_configElLj1ELj1EEELj1EyEEvNS0_11fixed_arrayIPT1_XT0_EEENS5_IjXT0_EEE: ; @_ZN7rocprim6detail21init_histogram_kernelINS0_24wrapped_histogram_configINS_14default_configElLj1ELj1EEELj1EyEEvNS0_11fixed_arrayIPT1_XT0_EEENS5_IjXT0_EEE
; %bb.0:
	s_load_b32 s2, s[0:1], 0x8
	v_lshl_or_b32 v0, s15, 8, v0
	s_waitcnt lgkmcnt(0)
	s_delay_alu instid0(VALU_DEP_1)
	v_cmp_gt_u32_e32 vcc_lo, s2, v0
	s_and_saveexec_b32 s2, vcc_lo
	s_cbranch_execz .LBB0_2
; %bb.1:
	s_load_b64 s[0:1], s[0:1], 0x0
	v_mov_b32_e32 v1, 0
	s_delay_alu instid0(VALU_DEP_1) | instskip(SKIP_2) | instid1(VALU_DEP_2)
	v_lshlrev_b64 v[2:3], 3, v[0:1]
	v_mov_b32_e32 v0, v1
	s_waitcnt lgkmcnt(0)
	v_add_co_u32 v2, vcc_lo, s0, v2
	s_delay_alu instid0(VALU_DEP_3)
	v_add_co_ci_u32_e32 v3, vcc_lo, s1, v3, vcc_lo
	global_store_b64 v[2:3], v[0:1], off
.LBB0_2:
	s_nop 0
	s_sendmsg sendmsg(MSG_DEALLOC_VGPRS)
	s_endpgm
	.section	.rodata,"a",@progbits
	.p2align	6, 0x0
	.amdhsa_kernel _ZN7rocprim6detail21init_histogram_kernelINS0_24wrapped_histogram_configINS_14default_configElLj1ELj1EEELj1EyEEvNS0_11fixed_arrayIPT1_XT0_EEENS5_IjXT0_EEE
		.amdhsa_group_segment_fixed_size 0
		.amdhsa_private_segment_fixed_size 0
		.amdhsa_kernarg_size 12
		.amdhsa_user_sgpr_count 15
		.amdhsa_user_sgpr_dispatch_ptr 0
		.amdhsa_user_sgpr_queue_ptr 0
		.amdhsa_user_sgpr_kernarg_segment_ptr 1
		.amdhsa_user_sgpr_dispatch_id 0
		.amdhsa_user_sgpr_private_segment_size 0
		.amdhsa_wavefront_size32 1
		.amdhsa_uses_dynamic_stack 0
		.amdhsa_enable_private_segment 0
		.amdhsa_system_sgpr_workgroup_id_x 1
		.amdhsa_system_sgpr_workgroup_id_y 0
		.amdhsa_system_sgpr_workgroup_id_z 0
		.amdhsa_system_sgpr_workgroup_info 0
		.amdhsa_system_vgpr_workitem_id 0
		.amdhsa_next_free_vgpr 4
		.amdhsa_next_free_sgpr 16
		.amdhsa_reserve_vcc 1
		.amdhsa_float_round_mode_32 0
		.amdhsa_float_round_mode_16_64 0
		.amdhsa_float_denorm_mode_32 3
		.amdhsa_float_denorm_mode_16_64 3
		.amdhsa_dx10_clamp 1
		.amdhsa_ieee_mode 1
		.amdhsa_fp16_overflow 0
		.amdhsa_workgroup_processor_mode 1
		.amdhsa_memory_ordered 1
		.amdhsa_forward_progress 0
		.amdhsa_shared_vgpr_count 0
		.amdhsa_exception_fp_ieee_invalid_op 0
		.amdhsa_exception_fp_denorm_src 0
		.amdhsa_exception_fp_ieee_div_zero 0
		.amdhsa_exception_fp_ieee_overflow 0
		.amdhsa_exception_fp_ieee_underflow 0
		.amdhsa_exception_fp_ieee_inexact 0
		.amdhsa_exception_int_div_zero 0
	.end_amdhsa_kernel
	.section	.text._ZN7rocprim6detail21init_histogram_kernelINS0_24wrapped_histogram_configINS_14default_configElLj1ELj1EEELj1EyEEvNS0_11fixed_arrayIPT1_XT0_EEENS5_IjXT0_EEE,"axG",@progbits,_ZN7rocprim6detail21init_histogram_kernelINS0_24wrapped_histogram_configINS_14default_configElLj1ELj1EEELj1EyEEvNS0_11fixed_arrayIPT1_XT0_EEENS5_IjXT0_EEE,comdat
.Lfunc_end0:
	.size	_ZN7rocprim6detail21init_histogram_kernelINS0_24wrapped_histogram_configINS_14default_configElLj1ELj1EEELj1EyEEvNS0_11fixed_arrayIPT1_XT0_EEENS5_IjXT0_EEE, .Lfunc_end0-_ZN7rocprim6detail21init_histogram_kernelINS0_24wrapped_histogram_configINS_14default_configElLj1ELj1EEELj1EyEEvNS0_11fixed_arrayIPT1_XT0_EEENS5_IjXT0_EEE
                                        ; -- End function
	.section	.AMDGPU.csdata,"",@progbits
; Kernel info:
; codeLenInByte = 104
; NumSgprs: 18
; NumVgprs: 4
; ScratchSize: 0
; MemoryBound: 0
; FloatMode: 240
; IeeeMode: 1
; LDSByteSize: 0 bytes/workgroup (compile time only)
; SGPRBlocks: 2
; VGPRBlocks: 0
; NumSGPRsForWavesPerEU: 18
; NumVGPRsForWavesPerEU: 4
; Occupancy: 16
; WaveLimiterHint : 0
; COMPUTE_PGM_RSRC2:SCRATCH_EN: 0
; COMPUTE_PGM_RSRC2:USER_SGPR: 15
; COMPUTE_PGM_RSRC2:TRAP_HANDLER: 0
; COMPUTE_PGM_RSRC2:TGID_X_EN: 1
; COMPUTE_PGM_RSRC2:TGID_Y_EN: 0
; COMPUTE_PGM_RSRC2:TGID_Z_EN: 0
; COMPUTE_PGM_RSRC2:TIDIG_COMP_CNT: 0
	.section	.text._ZN7rocprim6detail23histogram_shared_kernelINS0_24wrapped_histogram_configINS_14default_configElLj1ELj1EEELj1ELj1EPlyNS0_18sample_to_bin_evenIlvEEEEvT2_jjjjjNS0_11fixed_arrayIPT3_XT1_EEENS9_IT4_XT1_EEENS9_IjXT1_EEE,"axG",@progbits,_ZN7rocprim6detail23histogram_shared_kernelINS0_24wrapped_histogram_configINS_14default_configElLj1ELj1EEELj1ELj1EPlyNS0_18sample_to_bin_evenIlvEEEEvT2_jjjjjNS0_11fixed_arrayIPT3_XT1_EEENS9_IT4_XT1_EEENS9_IjXT1_EEE,comdat
	.protected	_ZN7rocprim6detail23histogram_shared_kernelINS0_24wrapped_histogram_configINS_14default_configElLj1ELj1EEELj1ELj1EPlyNS0_18sample_to_bin_evenIlvEEEEvT2_jjjjjNS0_11fixed_arrayIPT3_XT1_EEENS9_IT4_XT1_EEENS9_IjXT1_EEE ; -- Begin function _ZN7rocprim6detail23histogram_shared_kernelINS0_24wrapped_histogram_configINS_14default_configElLj1ELj1EEELj1ELj1EPlyNS0_18sample_to_bin_evenIlvEEEEvT2_jjjjjNS0_11fixed_arrayIPT3_XT1_EEENS9_IT4_XT1_EEENS9_IjXT1_EEE
	.globl	_ZN7rocprim6detail23histogram_shared_kernelINS0_24wrapped_histogram_configINS_14default_configElLj1ELj1EEELj1ELj1EPlyNS0_18sample_to_bin_evenIlvEEEEvT2_jjjjjNS0_11fixed_arrayIPT3_XT1_EEENS9_IT4_XT1_EEENS9_IjXT1_EEE
	.p2align	8
	.type	_ZN7rocprim6detail23histogram_shared_kernelINS0_24wrapped_histogram_configINS_14default_configElLj1ELj1EEELj1ELj1EPlyNS0_18sample_to_bin_evenIlvEEEEvT2_jjjjjNS0_11fixed_arrayIPT3_XT1_EEENS9_IT4_XT1_EEENS9_IjXT1_EEE,@function
_ZN7rocprim6detail23histogram_shared_kernelINS0_24wrapped_histogram_configINS_14default_configElLj1ELj1EEELj1ELj1EPlyNS0_18sample_to_bin_evenIlvEEEEvT2_jjjjjNS0_11fixed_arrayIPT3_XT1_EEENS9_IT4_XT1_EEENS9_IjXT1_EEE: ; @_ZN7rocprim6detail23histogram_shared_kernelINS0_24wrapped_histogram_configINS_14default_configElLj1ELj1EEELj1ELj1EPlyNS0_18sample_to_bin_evenIlvEEEEvT2_jjjjjNS0_11fixed_arrayIPT3_XT1_EEENS9_IT4_XT1_EEENS9_IjXT1_EEE
; %bb.0:
	s_clause 0x2
	s_load_b32 s25, s[0:1], 0x18
	s_load_b32 s24, s[0:1], 0x48
	s_load_b128 s[8:11], s[0:1], 0x8
	v_lshl_add_u32 v14, v0, 2, 0
	s_mov_b32 s5, 0
	s_mov_b32 s4, exec_lo
	s_waitcnt lgkmcnt(0)
	v_cvt_f32_u32_e32 v1, s25
	s_sub_i32 s2, 0, s25
	s_mul_i32 s3, s24, s25
	s_delay_alu instid0(VALU_DEP_1) | instskip(SKIP_2) | instid1(VALU_DEP_1)
	v_rcp_iflag_f32_e32 v1, v1
	s_waitcnt_depctr 0xfff
	v_mul_f32_e32 v1, 0x4f7ffffe, v1
	v_cvt_u32_f32_e32 v1, v1
	s_delay_alu instid0(VALU_DEP_1) | instskip(SKIP_4) | instid1(VALU_DEP_1)
	v_mul_lo_u32 v2, s2, v1
	s_clause 0x2
	s_load_b128 s[16:19], s[0:1], 0x30
	s_load_b64 s[6:7], s[0:1], 0x40
	s_load_b32 s2, s[0:1], 0x50
	v_mul_hi_u32 v2, v1, v2
	s_delay_alu instid0(VALU_DEP_1) | instskip(NEXT) | instid1(VALU_DEP_1)
	v_add_nc_u32_e32 v3, v1, v2
	v_mad_u64_u32 v[1:2], null, v0, v3, 0
	v_mov_b32_e32 v1, 0
	v_cmpx_gt_u32_e64 s3, v0
	s_cbranch_execz .LBB1_3
; %bb.1:
	v_lshl_add_u32 v3, v0, 2, 0
	v_mov_b32_e32 v4, v0
.LBB1_2:                                ; =>This Inner Loop Header: Depth=1
	s_delay_alu instid0(VALU_DEP_1) | instskip(SKIP_4) | instid1(SALU_CYCLE_1)
	v_add_nc_u32_e32 v4, 0x100, v4
	ds_store_b32 v3, v1
	v_add_nc_u32_e32 v3, 0x400, v3
	v_cmp_le_u32_e32 vcc_lo, s3, v4
	s_or_b32 s5, vcc_lo, s5
	s_and_not1_b32 exec_lo, exec_lo, s5
	s_cbranch_execnz .LBB1_2
.LBB1_3:
	s_or_b32 exec_lo, exec_lo, s4
	s_mul_i32 s26, s15, s11
	s_waitcnt lgkmcnt(0)
	s_add_i32 s3, s26, s11
	s_barrier
	s_min_u32 s9, s9, s3
	buffer_gl0_inv
	s_cmp_ge_u32 s26, s9
	s_cbranch_scc1 .LBB1_91
; %bb.4:
	v_mul_lo_u32 v1, v2, s25
	v_cvt_f32_u32_e32 v2, s6
	s_lshl_b32 s11, s14, 10
	s_load_b64 s[12:13], s[0:1], 0x0
	s_cmp_gt_u32 s8, s11
	v_lshlrev_b32_e32 v15, 2, v0
	v_rcp_iflag_f32_e32 v2, v2
	s_cselect_b32 s27, -1, 0
	v_sub_nc_u32_e32 v1, v0, v1
	s_sub_i32 s3, 0, s6
	v_mov_b32_e32 v9, 0
	v_mov_b32_e32 v17, 1
	v_or_b32_e32 v18, 1, v15
	v_subrev_nc_u32_e32 v3, s25, v1
	v_cmp_le_u32_e32 vcc_lo, s25, v1
	v_or_b32_e32 v19, 2, v15
	v_mul_f32_e32 v2, 0x4f7ffffe, v2
	v_or_b32_e32 v20, 3, v15
	v_lshlrev_b32_e32 v21, 3, v15
	v_cndmask_b32_e32 v1, v1, v3, vcc_lo
	s_mov_b32 s15, 0
	v_cvt_u32_f32_e32 v2, v2
	s_lshl_b32 s28, s2, 10
	s_sub_i32 s29, s8, s11
	v_subrev_nc_u32_e32 v3, s25, v1
	v_cmp_le_u32_e32 vcc_lo, s25, v1
	v_mul_lo_u32 v4, s3, v2
	s_ashr_i32 s20, s7, 31
	v_lshlrev_b32_e32 v16, 3, v0
                                        ; implicit-def: $vgpr11
                                        ; implicit-def: $vgpr24
	v_cndmask_b32_e32 v1, v1, v3, vcc_lo
	s_delay_alu instid0(VALU_DEP_3) | instskip(NEXT) | instid1(VALU_DEP_2)
	v_mul_hi_u32 v3, v2, v4
	v_mul_lo_u32 v1, v1, s24
	s_delay_alu instid0(VALU_DEP_2) | instskip(NEXT) | instid1(VALU_DEP_2)
	v_add_nc_u32_e32 v23, v2, v3
	v_lshl_add_u32 v22, v1, 2, 0
	s_branch .LBB1_6
.LBB1_5:                                ;   in Loop: Header=BB1_6 Depth=1
	s_add_i32 s26, s26, 1
	s_delay_alu instid0(SALU_CYCLE_1)
	s_cmp_ge_u32 s26, s9
	s_cbranch_scc1 .LBB1_91
.LBB1_6:                                ; =>This Loop Header: Depth=1
                                        ;     Child Loop BB1_9 Depth 2
	s_and_not1_b32 vcc_lo, exec_lo, s27
	s_cbranch_vccnz .LBB1_5
; %bb.7:                                ;   in Loop: Header=BB1_6 Depth=1
	s_mul_i32 s14, s26, s10
	s_mov_b32 s30, s29
	s_lshl_b64 s[2:3], s[14:15], 3
	s_mov_b32 s14, s11
	s_waitcnt lgkmcnt(0)
	s_add_u32 s2, s12, s2
	s_addc_u32 s3, s13, s3
	v_add_co_u32 v25, s4, s2, v16
	v_add_co_u32 v27, s2, s2, v21
	v_add_co_ci_u32_e64 v26, null, s3, 0, s4
	v_add_co_ci_u32_e64 v28, null, s3, 0, s2
	s_branch .LBB1_9
.LBB1_8:                                ;   in Loop: Header=BB1_9 Depth=2
	s_or_b32 exec_lo, exec_lo, s2
	s_add_i32 s14, s14, s28
	s_sub_i32 s30, s30, s28
	s_cmp_lt_u32 s14, s8
	s_cbranch_scc0 .LBB1_5
.LBB1_9:                                ;   Parent Loop BB1_6 Depth=1
                                        ; =>  This Inner Loop Header: Depth=2
	s_add_i32 s2, s14, 0x400
	s_delay_alu instid0(SALU_CYCLE_1)
	s_cmp_gt_u32 s2, s8
	s_cbranch_scc1 .LBB1_42
; %bb.10:                               ;   in Loop: Header=BB1_9 Depth=2
	s_lshl_b64 s[2:3], s[14:15], 3
	s_delay_alu instid0(SALU_CYCLE_1) | instskip(SKIP_1) | instid1(VALU_DEP_2)
	v_add_co_u32 v1, vcc_lo, v25, s2
	v_add_co_ci_u32_e32 v2, vcc_lo, s3, v26, vcc_lo
	v_add_co_u32 v7, vcc_lo, 0x1000, v1
	global_load_b64 v[12:13], v[1:2], off
	v_add_co_ci_u32_e32 v8, vcc_lo, 0, v2, vcc_lo
	s_clause 0x2
	global_load_b64 v[5:6], v[1:2], off offset:2048
	global_load_b64 v[3:4], v[7:8], off
	global_load_b64 v[1:2], v[7:8], off offset:2048
	v_mov_b32_e32 v7, v24
	s_waitcnt vmcnt(3)
	v_cmp_le_i64_e32 vcc_lo, s[16:17], v[12:13]
	v_cmp_gt_i64_e64 s2, s[18:19], v[12:13]
	s_delay_alu instid0(VALU_DEP_1) | instskip(NEXT) | instid1(SALU_CYCLE_1)
	s_and_b32 s3, vcc_lo, s2
	s_and_saveexec_b32 s22, s3
	s_cbranch_execz .LBB1_16
; %bb.11:                               ;   in Loop: Header=BB1_9 Depth=2
	v_sub_co_u32 v12, vcc_lo, v12, s16
	v_subrev_co_ci_u32_e32 v13, vcc_lo, s17, v13, vcc_lo
                                        ; implicit-def: $vgpr7_vgpr8
	s_mov_b32 s2, exec_lo
	s_delay_alu instid0(VALU_DEP_1) | instskip(NEXT) | instid1(VALU_DEP_1)
	v_or_b32_e32 v10, s7, v13
	v_cmpx_ne_u64_e32 0, v[9:10]
	s_xor_b32 s23, exec_lo, s2
	s_cbranch_execz .LBB1_13
; %bb.12:                               ;   in Loop: Header=BB1_9 Depth=2
	s_add_u32 s4, s6, s20
	s_mov_b32 s21, s20
	s_addc_u32 s5, s7, s20
	s_delay_alu instid0(SALU_CYCLE_1) | instskip(NEXT) | instid1(SALU_CYCLE_1)
	s_xor_b64 s[4:5], s[4:5], s[20:21]
	v_cvt_f32_u32_e32 v7, s4
	v_cvt_f32_u32_e32 v8, s5
	s_sub_u32 s2, 0, s4
	s_subb_u32 s21, 0, s5
	s_delay_alu instid0(VALU_DEP_1) | instskip(NEXT) | instid1(VALU_DEP_1)
	v_fmac_f32_e32 v7, 0x4f800000, v8
	v_rcp_f32_e32 v7, v7
	s_waitcnt_depctr 0xfff
	v_mul_f32_e32 v7, 0x5f7ffffc, v7
	s_delay_alu instid0(VALU_DEP_1) | instskip(NEXT) | instid1(VALU_DEP_1)
	v_mul_f32_e32 v8, 0x2f800000, v7
	v_trunc_f32_e32 v8, v8
	s_delay_alu instid0(VALU_DEP_1) | instskip(SKIP_1) | instid1(VALU_DEP_2)
	v_fmac_f32_e32 v7, 0xcf800000, v8
	v_cvt_u32_f32_e32 v8, v8
	v_cvt_u32_f32_e32 v7, v7
	s_delay_alu instid0(VALU_DEP_2) | instskip(NEXT) | instid1(VALU_DEP_2)
	v_mul_lo_u32 v10, s2, v8
	v_mul_hi_u32 v29, s2, v7
	v_mul_lo_u32 v30, s21, v7
	s_delay_alu instid0(VALU_DEP_2) | instskip(SKIP_1) | instid1(VALU_DEP_2)
	v_add_nc_u32_e32 v10, v29, v10
	v_mul_lo_u32 v29, s2, v7
	v_add_nc_u32_e32 v10, v10, v30
	s_delay_alu instid0(VALU_DEP_2) | instskip(NEXT) | instid1(VALU_DEP_2)
	v_mul_hi_u32 v30, v7, v29
	v_mul_lo_u32 v31, v7, v10
	v_mul_hi_u32 v32, v7, v10
	v_mul_hi_u32 v33, v8, v29
	v_mul_lo_u32 v29, v8, v29
	v_mul_hi_u32 v34, v8, v10
	v_mul_lo_u32 v10, v8, v10
	v_add_co_u32 v30, vcc_lo, v30, v31
	v_add_co_ci_u32_e32 v31, vcc_lo, 0, v32, vcc_lo
	s_delay_alu instid0(VALU_DEP_2) | instskip(NEXT) | instid1(VALU_DEP_2)
	v_add_co_u32 v29, vcc_lo, v30, v29
	v_add_co_ci_u32_e32 v29, vcc_lo, v31, v33, vcc_lo
	v_add_co_ci_u32_e32 v30, vcc_lo, 0, v34, vcc_lo
	v_ashrrev_i32_e32 v33, 31, v13
	s_delay_alu instid0(VALU_DEP_3) | instskip(NEXT) | instid1(VALU_DEP_3)
	v_add_co_u32 v10, vcc_lo, v29, v10
	v_add_co_ci_u32_e32 v29, vcc_lo, 0, v30, vcc_lo
	s_delay_alu instid0(VALU_DEP_2) | instskip(NEXT) | instid1(VALU_DEP_2)
	v_add_co_u32 v7, vcc_lo, v7, v10
	v_add_co_ci_u32_e32 v8, vcc_lo, v8, v29, vcc_lo
	s_delay_alu instid0(VALU_DEP_2) | instskip(SKIP_1) | instid1(VALU_DEP_3)
	v_mul_hi_u32 v10, s2, v7
	v_mul_lo_u32 v30, s21, v7
	v_mul_lo_u32 v29, s2, v8
	s_delay_alu instid0(VALU_DEP_1) | instskip(SKIP_1) | instid1(VALU_DEP_2)
	v_add_nc_u32_e32 v10, v10, v29
	v_mul_lo_u32 v29, s2, v7
	v_add_nc_u32_e32 v10, v10, v30
	s_delay_alu instid0(VALU_DEP_2) | instskip(NEXT) | instid1(VALU_DEP_2)
	v_mul_hi_u32 v30, v7, v29
	v_mul_lo_u32 v31, v7, v10
	v_mul_hi_u32 v32, v7, v10
	v_mul_hi_u32 v34, v8, v29
	v_mul_lo_u32 v29, v8, v29
	v_mul_hi_u32 v35, v8, v10
	v_mul_lo_u32 v10, v8, v10
	v_add_co_u32 v30, vcc_lo, v30, v31
	v_add_co_ci_u32_e32 v31, vcc_lo, 0, v32, vcc_lo
	s_delay_alu instid0(VALU_DEP_2) | instskip(NEXT) | instid1(VALU_DEP_2)
	v_add_co_u32 v29, vcc_lo, v30, v29
	v_add_co_ci_u32_e32 v29, vcc_lo, v31, v34, vcc_lo
	v_add_co_ci_u32_e32 v30, vcc_lo, 0, v35, vcc_lo
	v_add_co_u32 v12, vcc_lo, v12, v33
	v_add_co_ci_u32_e32 v13, vcc_lo, v13, v33, vcc_lo
	s_delay_alu instid0(VALU_DEP_4) | instskip(NEXT) | instid1(VALU_DEP_4)
	v_add_co_u32 v10, vcc_lo, v29, v10
	v_add_co_ci_u32_e32 v29, vcc_lo, 0, v30, vcc_lo
	s_delay_alu instid0(VALU_DEP_4) | instskip(NEXT) | instid1(VALU_DEP_3)
	v_xor_b32_e32 v31, v12, v33
	v_add_co_u32 v10, vcc_lo, v7, v10
	s_delay_alu instid0(VALU_DEP_3) | instskip(SKIP_1) | instid1(VALU_DEP_3)
	v_add_co_ci_u32_e32 v32, vcc_lo, v8, v29, vcc_lo
	v_xor_b32_e32 v34, v13, v33
	v_mul_hi_u32 v35, v31, v10
	s_delay_alu instid0(VALU_DEP_3) | instskip(NEXT) | instid1(VALU_DEP_3)
	v_mad_u64_u32 v[7:8], null, v31, v32, 0
	v_mad_u64_u32 v[12:13], null, v34, v10, 0
	;; [unrolled: 1-line block ×3, first 2 shown]
	s_delay_alu instid0(VALU_DEP_3) | instskip(NEXT) | instid1(VALU_DEP_4)
	v_add_co_u32 v7, vcc_lo, v35, v7
	v_add_co_ci_u32_e32 v8, vcc_lo, 0, v8, vcc_lo
	s_delay_alu instid0(VALU_DEP_2) | instskip(NEXT) | instid1(VALU_DEP_2)
	v_add_co_u32 v7, vcc_lo, v7, v12
	v_add_co_ci_u32_e32 v7, vcc_lo, v8, v13, vcc_lo
	v_add_co_ci_u32_e32 v8, vcc_lo, 0, v30, vcc_lo
	s_delay_alu instid0(VALU_DEP_2) | instskip(NEXT) | instid1(VALU_DEP_2)
	v_add_co_u32 v10, vcc_lo, v7, v29
	v_add_co_ci_u32_e32 v12, vcc_lo, 0, v8, vcc_lo
	s_delay_alu instid0(VALU_DEP_2) | instskip(SKIP_1) | instid1(VALU_DEP_3)
	v_mul_lo_u32 v13, s5, v10
	v_mad_u64_u32 v[7:8], null, s4, v10, 0
	v_mul_lo_u32 v12, s4, v12
	s_delay_alu instid0(VALU_DEP_2) | instskip(NEXT) | instid1(VALU_DEP_2)
	v_sub_co_u32 v7, vcc_lo, v31, v7
	v_add3_u32 v8, v8, v12, v13
	v_add_co_u32 v13, s2, v10, 2
	s_delay_alu instid0(VALU_DEP_2) | instskip(NEXT) | instid1(VALU_DEP_1)
	v_sub_nc_u32_e32 v12, v34, v8
	v_subrev_co_ci_u32_e64 v12, s2, s5, v12, vcc_lo
	v_sub_co_u32 v29, s2, v7, s4
	v_sub_co_ci_u32_e32 v8, vcc_lo, v34, v8, vcc_lo
	s_delay_alu instid0(VALU_DEP_3) | instskip(NEXT) | instid1(VALU_DEP_3)
	v_subrev_co_ci_u32_e64 v12, s2, 0, v12, s2
	v_cmp_le_u32_e32 vcc_lo, s4, v29
	v_cndmask_b32_e64 v29, 0, -1, vcc_lo
	s_delay_alu instid0(VALU_DEP_3)
	v_cmp_le_u32_e32 vcc_lo, s5, v12
	v_cndmask_b32_e64 v30, 0, -1, vcc_lo
	v_cmp_le_u32_e32 vcc_lo, s4, v7
	v_cndmask_b32_e64 v7, 0, -1, vcc_lo
	;; [unrolled: 2-line block ×3, first 2 shown]
	v_cmp_eq_u32_e32 vcc_lo, s5, v12
	v_cndmask_b32_e32 v12, v30, v29, vcc_lo
	v_add_co_u32 v29, vcc_lo, v10, 1
	v_cmp_eq_u32_e32 vcc_lo, s5, v8
	v_cndmask_b32_e32 v7, v31, v7, vcc_lo
	s_delay_alu instid0(VALU_DEP_4) | instskip(NEXT) | instid1(VALU_DEP_4)
	v_cmp_ne_u32_e32 vcc_lo, 0, v12
                                        ; implicit-def: $vgpr12
	v_cndmask_b32_e32 v8, v29, v13, vcc_lo
	s_delay_alu instid0(VALU_DEP_3) | instskip(NEXT) | instid1(VALU_DEP_2)
	v_cmp_ne_u32_e32 vcc_lo, 0, v7
	v_cndmask_b32_e32 v7, v10, v8, vcc_lo
	v_xor_b32_e32 v8, s20, v33
	s_delay_alu instid0(VALU_DEP_1) | instskip(NEXT) | instid1(VALU_DEP_1)
	v_xor_b32_e32 v7, v7, v8
	v_sub_co_u32 v7, vcc_lo, v7, v8
.LBB1_13:                               ;   in Loop: Header=BB1_9 Depth=2
	s_and_not1_saveexec_b32 s2, s23
; %bb.14:                               ;   in Loop: Header=BB1_9 Depth=2
	v_mul_hi_u32 v7, v12, v23
	s_delay_alu instid0(VALU_DEP_1) | instskip(SKIP_1) | instid1(VALU_DEP_2)
	v_mul_lo_u32 v8, v7, s6
	v_add_nc_u32_e32 v10, 1, v7
	v_sub_nc_u32_e32 v8, v12, v8
	s_delay_alu instid0(VALU_DEP_1) | instskip(SKIP_1) | instid1(VALU_DEP_2)
	v_subrev_nc_u32_e32 v12, s6, v8
	v_cmp_le_u32_e32 vcc_lo, s6, v8
	v_dual_cndmask_b32 v8, v8, v12 :: v_dual_cndmask_b32 v7, v7, v10
	s_delay_alu instid0(VALU_DEP_1) | instskip(NEXT) | instid1(VALU_DEP_2)
	v_cmp_le_u32_e32 vcc_lo, s6, v8
	v_add_nc_u32_e32 v10, 1, v7
	s_delay_alu instid0(VALU_DEP_1)
	v_cndmask_b32_e32 v7, v7, v10, vcc_lo
; %bb.15:                               ;   in Loop: Header=BB1_9 Depth=2
	s_or_b32 exec_lo, exec_lo, s2
.LBB1_16:                               ;   in Loop: Header=BB1_9 Depth=2
	s_delay_alu instid0(SALU_CYCLE_1)
	s_or_b32 exec_lo, exec_lo, s22
	s_and_saveexec_b32 s2, s3
	s_cbranch_execz .LBB1_18
; %bb.17:                               ;   in Loop: Header=BB1_9 Depth=2
	v_lshl_add_u32 v8, v7, 2, v22
	ds_add_u32 v8, v17
.LBB1_18:                               ;   in Loop: Header=BB1_9 Depth=2
	s_or_b32 exec_lo, exec_lo, s2
	s_waitcnt vmcnt(2)
	v_cmp_le_i64_e32 vcc_lo, s[16:17], v[5:6]
	v_cmp_gt_i64_e64 s2, s[18:19], v[5:6]
	s_delay_alu instid0(VALU_DEP_1) | instskip(NEXT) | instid1(SALU_CYCLE_1)
	s_and_b32 s3, vcc_lo, s2
	s_and_saveexec_b32 s22, s3
	s_cbranch_execz .LBB1_24
; %bb.19:                               ;   in Loop: Header=BB1_9 Depth=2
	v_sub_co_u32 v5, vcc_lo, v5, s16
	v_subrev_co_ci_u32_e32 v6, vcc_lo, s17, v6, vcc_lo
                                        ; implicit-def: $vgpr7_vgpr8
	s_mov_b32 s2, exec_lo
	s_delay_alu instid0(VALU_DEP_1) | instskip(NEXT) | instid1(VALU_DEP_1)
	v_or_b32_e32 v10, s7, v6
	v_cmpx_ne_u64_e32 0, v[9:10]
	s_xor_b32 s23, exec_lo, s2
	s_cbranch_execz .LBB1_21
; %bb.20:                               ;   in Loop: Header=BB1_9 Depth=2
	s_add_u32 s4, s6, s20
	s_mov_b32 s21, s20
	s_addc_u32 s5, s7, s20
	s_delay_alu instid0(SALU_CYCLE_1) | instskip(NEXT) | instid1(SALU_CYCLE_1)
	s_xor_b64 s[4:5], s[4:5], s[20:21]
	v_cvt_f32_u32_e32 v7, s4
	v_cvt_f32_u32_e32 v8, s5
	s_sub_u32 s2, 0, s4
	s_subb_u32 s21, 0, s5
	s_delay_alu instid0(VALU_DEP_1) | instskip(NEXT) | instid1(VALU_DEP_1)
	v_fmac_f32_e32 v7, 0x4f800000, v8
	v_rcp_f32_e32 v7, v7
	s_waitcnt_depctr 0xfff
	v_mul_f32_e32 v7, 0x5f7ffffc, v7
	s_delay_alu instid0(VALU_DEP_1) | instskip(NEXT) | instid1(VALU_DEP_1)
	v_mul_f32_e32 v8, 0x2f800000, v7
	v_trunc_f32_e32 v8, v8
	s_delay_alu instid0(VALU_DEP_1) | instskip(SKIP_1) | instid1(VALU_DEP_2)
	v_fmac_f32_e32 v7, 0xcf800000, v8
	v_cvt_u32_f32_e32 v8, v8
	v_cvt_u32_f32_e32 v7, v7
	s_delay_alu instid0(VALU_DEP_2) | instskip(NEXT) | instid1(VALU_DEP_2)
	v_mul_lo_u32 v10, s2, v8
	v_mul_hi_u32 v12, s2, v7
	v_mul_lo_u32 v13, s21, v7
	s_delay_alu instid0(VALU_DEP_2) | instskip(SKIP_1) | instid1(VALU_DEP_2)
	v_add_nc_u32_e32 v10, v12, v10
	v_mul_lo_u32 v12, s2, v7
	v_add_nc_u32_e32 v10, v10, v13
	s_delay_alu instid0(VALU_DEP_2) | instskip(NEXT) | instid1(VALU_DEP_2)
	v_mul_hi_u32 v13, v7, v12
	v_mul_lo_u32 v29, v7, v10
	v_mul_hi_u32 v30, v7, v10
	v_mul_hi_u32 v31, v8, v12
	v_mul_lo_u32 v12, v8, v12
	v_mul_hi_u32 v32, v8, v10
	v_mul_lo_u32 v10, v8, v10
	v_add_co_u32 v13, vcc_lo, v13, v29
	v_add_co_ci_u32_e32 v29, vcc_lo, 0, v30, vcc_lo
	s_delay_alu instid0(VALU_DEP_2) | instskip(NEXT) | instid1(VALU_DEP_2)
	v_add_co_u32 v12, vcc_lo, v13, v12
	v_add_co_ci_u32_e32 v12, vcc_lo, v29, v31, vcc_lo
	v_add_co_ci_u32_e32 v13, vcc_lo, 0, v32, vcc_lo
	v_ashrrev_i32_e32 v31, 31, v6
	s_delay_alu instid0(VALU_DEP_3) | instskip(NEXT) | instid1(VALU_DEP_3)
	v_add_co_u32 v10, vcc_lo, v12, v10
	v_add_co_ci_u32_e32 v12, vcc_lo, 0, v13, vcc_lo
	s_delay_alu instid0(VALU_DEP_2) | instskip(NEXT) | instid1(VALU_DEP_2)
	v_add_co_u32 v7, vcc_lo, v7, v10
	v_add_co_ci_u32_e32 v8, vcc_lo, v8, v12, vcc_lo
	s_delay_alu instid0(VALU_DEP_2) | instskip(SKIP_1) | instid1(VALU_DEP_3)
	v_mul_hi_u32 v10, s2, v7
	v_mul_lo_u32 v13, s21, v7
	v_mul_lo_u32 v12, s2, v8
	s_delay_alu instid0(VALU_DEP_1) | instskip(SKIP_1) | instid1(VALU_DEP_2)
	v_add_nc_u32_e32 v10, v10, v12
	v_mul_lo_u32 v12, s2, v7
	v_add_nc_u32_e32 v10, v10, v13
	s_delay_alu instid0(VALU_DEP_2) | instskip(NEXT) | instid1(VALU_DEP_2)
	v_mul_hi_u32 v13, v7, v12
	v_mul_lo_u32 v29, v7, v10
	v_mul_hi_u32 v30, v7, v10
	v_mul_hi_u32 v32, v8, v12
	v_mul_lo_u32 v12, v8, v12
	v_mul_hi_u32 v33, v8, v10
	v_mul_lo_u32 v10, v8, v10
	v_add_co_u32 v13, vcc_lo, v13, v29
	v_add_co_ci_u32_e32 v29, vcc_lo, 0, v30, vcc_lo
	s_delay_alu instid0(VALU_DEP_2) | instskip(NEXT) | instid1(VALU_DEP_2)
	v_add_co_u32 v12, vcc_lo, v13, v12
	v_add_co_ci_u32_e32 v12, vcc_lo, v29, v32, vcc_lo
	v_add_co_ci_u32_e32 v13, vcc_lo, 0, v33, vcc_lo
	v_add_co_u32 v5, vcc_lo, v5, v31
	v_add_co_ci_u32_e32 v6, vcc_lo, v6, v31, vcc_lo
	s_delay_alu instid0(VALU_DEP_4) | instskip(NEXT) | instid1(VALU_DEP_4)
	v_add_co_u32 v10, vcc_lo, v12, v10
	v_add_co_ci_u32_e32 v12, vcc_lo, 0, v13, vcc_lo
	s_delay_alu instid0(VALU_DEP_4) | instskip(NEXT) | instid1(VALU_DEP_3)
	v_xor_b32_e32 v29, v5, v31
	v_add_co_u32 v10, vcc_lo, v7, v10
	s_delay_alu instid0(VALU_DEP_3) | instskip(SKIP_1) | instid1(VALU_DEP_3)
	v_add_co_ci_u32_e32 v30, vcc_lo, v8, v12, vcc_lo
	v_xor_b32_e32 v32, v6, v31
	v_mul_hi_u32 v33, v29, v10
	s_delay_alu instid0(VALU_DEP_3) | instskip(NEXT) | instid1(VALU_DEP_3)
	v_mad_u64_u32 v[5:6], null, v29, v30, 0
	v_mad_u64_u32 v[7:8], null, v32, v10, 0
	;; [unrolled: 1-line block ×3, first 2 shown]
	s_delay_alu instid0(VALU_DEP_3) | instskip(NEXT) | instid1(VALU_DEP_4)
	v_add_co_u32 v5, vcc_lo, v33, v5
	v_add_co_ci_u32_e32 v6, vcc_lo, 0, v6, vcc_lo
	s_delay_alu instid0(VALU_DEP_2) | instskip(NEXT) | instid1(VALU_DEP_2)
	v_add_co_u32 v5, vcc_lo, v5, v7
	v_add_co_ci_u32_e32 v5, vcc_lo, v6, v8, vcc_lo
	v_add_co_ci_u32_e32 v6, vcc_lo, 0, v13, vcc_lo
	s_delay_alu instid0(VALU_DEP_2) | instskip(NEXT) | instid1(VALU_DEP_2)
	v_add_co_u32 v7, vcc_lo, v5, v12
	v_add_co_ci_u32_e32 v8, vcc_lo, 0, v6, vcc_lo
	s_delay_alu instid0(VALU_DEP_2) | instskip(SKIP_1) | instid1(VALU_DEP_3)
	v_mul_lo_u32 v10, s5, v7
	v_mad_u64_u32 v[5:6], null, s4, v7, 0
	v_mul_lo_u32 v8, s4, v8
	s_delay_alu instid0(VALU_DEP_2) | instskip(NEXT) | instid1(VALU_DEP_2)
	v_sub_co_u32 v5, vcc_lo, v29, v5
	v_add3_u32 v6, v6, v8, v10
	v_add_co_u32 v10, s2, v7, 2
	s_delay_alu instid0(VALU_DEP_2) | instskip(NEXT) | instid1(VALU_DEP_1)
	v_sub_nc_u32_e32 v8, v32, v6
	v_subrev_co_ci_u32_e64 v8, s2, s5, v8, vcc_lo
	v_sub_co_u32 v12, s2, v5, s4
	v_sub_co_ci_u32_e32 v6, vcc_lo, v32, v6, vcc_lo
	s_delay_alu instid0(VALU_DEP_3) | instskip(NEXT) | instid1(VALU_DEP_3)
	v_subrev_co_ci_u32_e64 v8, s2, 0, v8, s2
	v_cmp_le_u32_e32 vcc_lo, s4, v12
	v_cndmask_b32_e64 v12, 0, -1, vcc_lo
	s_delay_alu instid0(VALU_DEP_3)
	v_cmp_le_u32_e32 vcc_lo, s5, v8
	v_cndmask_b32_e64 v13, 0, -1, vcc_lo
	v_cmp_le_u32_e32 vcc_lo, s4, v5
	v_cndmask_b32_e64 v5, 0, -1, vcc_lo
	v_cmp_le_u32_e32 vcc_lo, s5, v6
	v_cndmask_b32_e64 v29, 0, -1, vcc_lo
	v_cmp_eq_u32_e32 vcc_lo, s5, v8
	v_cndmask_b32_e32 v8, v13, v12, vcc_lo
	v_add_co_u32 v12, vcc_lo, v7, 1
	v_cmp_eq_u32_e32 vcc_lo, s5, v6
	v_cndmask_b32_e32 v5, v29, v5, vcc_lo
	s_delay_alu instid0(VALU_DEP_4) | instskip(NEXT) | instid1(VALU_DEP_4)
	v_cmp_ne_u32_e32 vcc_lo, 0, v8
	v_cndmask_b32_e32 v6, v12, v10, vcc_lo
	s_delay_alu instid0(VALU_DEP_3) | instskip(NEXT) | instid1(VALU_DEP_2)
	v_cmp_ne_u32_e32 vcc_lo, 0, v5
	v_cndmask_b32_e32 v5, v7, v6, vcc_lo
	v_xor_b32_e32 v6, s20, v31
	s_delay_alu instid0(VALU_DEP_1) | instskip(NEXT) | instid1(VALU_DEP_1)
	v_xor_b32_e32 v5, v5, v6
	v_sub_co_u32 v7, vcc_lo, v5, v6
                                        ; implicit-def: $vgpr5
.LBB1_21:                               ;   in Loop: Header=BB1_9 Depth=2
	s_and_not1_saveexec_b32 s2, s23
; %bb.22:                               ;   in Loop: Header=BB1_9 Depth=2
	v_mul_hi_u32 v6, v5, v23
	s_delay_alu instid0(VALU_DEP_1) | instskip(NEXT) | instid1(VALU_DEP_1)
	v_mul_lo_u32 v7, v6, s6
	v_sub_nc_u32_e32 v5, v5, v7
	v_add_nc_u32_e32 v7, 1, v6
	s_delay_alu instid0(VALU_DEP_2) | instskip(SKIP_1) | instid1(VALU_DEP_2)
	v_subrev_nc_u32_e32 v8, s6, v5
	v_cmp_le_u32_e32 vcc_lo, s6, v5
	v_dual_cndmask_b32 v5, v5, v8 :: v_dual_cndmask_b32 v6, v6, v7
	s_delay_alu instid0(VALU_DEP_1) | instskip(NEXT) | instid1(VALU_DEP_2)
	v_cmp_le_u32_e32 vcc_lo, s6, v5
	v_add_nc_u32_e32 v7, 1, v6
	s_delay_alu instid0(VALU_DEP_1)
	v_cndmask_b32_e32 v7, v6, v7, vcc_lo
; %bb.23:                               ;   in Loop: Header=BB1_9 Depth=2
	s_or_b32 exec_lo, exec_lo, s2
.LBB1_24:                               ;   in Loop: Header=BB1_9 Depth=2
	s_delay_alu instid0(SALU_CYCLE_1)
	s_or_b32 exec_lo, exec_lo, s22
	s_and_saveexec_b32 s2, s3
	s_cbranch_execz .LBB1_26
; %bb.25:                               ;   in Loop: Header=BB1_9 Depth=2
	v_lshl_add_u32 v5, v7, 2, v22
	ds_add_u32 v5, v17
.LBB1_26:                               ;   in Loop: Header=BB1_9 Depth=2
	s_or_b32 exec_lo, exec_lo, s2
	s_waitcnt vmcnt(1)
	v_cmp_le_i64_e32 vcc_lo, s[16:17], v[3:4]
	v_cmp_gt_i64_e64 s2, s[18:19], v[3:4]
	s_delay_alu instid0(VALU_DEP_1) | instskip(NEXT) | instid1(SALU_CYCLE_1)
	s_and_b32 s3, vcc_lo, s2
	s_and_saveexec_b32 s22, s3
	s_cbranch_execz .LBB1_32
; %bb.27:                               ;   in Loop: Header=BB1_9 Depth=2
	v_sub_co_u32 v3, vcc_lo, v3, s16
	v_subrev_co_ci_u32_e32 v4, vcc_lo, s17, v4, vcc_lo
                                        ; implicit-def: $vgpr7_vgpr8
	s_mov_b32 s2, exec_lo
	s_delay_alu instid0(VALU_DEP_1) | instskip(NEXT) | instid1(VALU_DEP_1)
	v_or_b32_e32 v10, s7, v4
	v_cmpx_ne_u64_e32 0, v[9:10]
	s_xor_b32 s23, exec_lo, s2
	s_cbranch_execz .LBB1_29
; %bb.28:                               ;   in Loop: Header=BB1_9 Depth=2
	s_add_u32 s4, s6, s20
	s_mov_b32 s21, s20
	s_addc_u32 s5, s7, s20
	s_delay_alu instid0(SALU_CYCLE_1) | instskip(NEXT) | instid1(SALU_CYCLE_1)
	s_xor_b64 s[4:5], s[4:5], s[20:21]
	v_cvt_f32_u32_e32 v5, s4
	v_cvt_f32_u32_e32 v6, s5
	s_sub_u32 s2, 0, s4
	s_subb_u32 s21, 0, s5
	s_delay_alu instid0(VALU_DEP_1) | instskip(NEXT) | instid1(VALU_DEP_1)
	v_fmac_f32_e32 v5, 0x4f800000, v6
	v_rcp_f32_e32 v5, v5
	s_waitcnt_depctr 0xfff
	v_mul_f32_e32 v5, 0x5f7ffffc, v5
	s_delay_alu instid0(VALU_DEP_1) | instskip(NEXT) | instid1(VALU_DEP_1)
	v_mul_f32_e32 v6, 0x2f800000, v5
	v_trunc_f32_e32 v6, v6
	s_delay_alu instid0(VALU_DEP_1) | instskip(SKIP_1) | instid1(VALU_DEP_2)
	v_fmac_f32_e32 v5, 0xcf800000, v6
	v_cvt_u32_f32_e32 v6, v6
	v_cvt_u32_f32_e32 v5, v5
	s_delay_alu instid0(VALU_DEP_2) | instskip(NEXT) | instid1(VALU_DEP_2)
	v_mul_lo_u32 v7, s2, v6
	v_mul_hi_u32 v8, s2, v5
	v_mul_lo_u32 v10, s21, v5
	s_delay_alu instid0(VALU_DEP_2) | instskip(SKIP_1) | instid1(VALU_DEP_2)
	v_add_nc_u32_e32 v7, v8, v7
	v_mul_lo_u32 v8, s2, v5
	v_add_nc_u32_e32 v7, v7, v10
	s_delay_alu instid0(VALU_DEP_2) | instskip(NEXT) | instid1(VALU_DEP_2)
	v_mul_hi_u32 v10, v5, v8
	v_mul_lo_u32 v12, v5, v7
	v_mul_hi_u32 v13, v5, v7
	v_mul_hi_u32 v29, v6, v8
	v_mul_lo_u32 v8, v6, v8
	v_mul_hi_u32 v30, v6, v7
	v_mul_lo_u32 v7, v6, v7
	v_add_co_u32 v10, vcc_lo, v10, v12
	v_add_co_ci_u32_e32 v12, vcc_lo, 0, v13, vcc_lo
	s_delay_alu instid0(VALU_DEP_2) | instskip(NEXT) | instid1(VALU_DEP_2)
	v_add_co_u32 v8, vcc_lo, v10, v8
	v_add_co_ci_u32_e32 v8, vcc_lo, v12, v29, vcc_lo
	v_add_co_ci_u32_e32 v10, vcc_lo, 0, v30, vcc_lo
	v_ashrrev_i32_e32 v29, 31, v4
	s_delay_alu instid0(VALU_DEP_3) | instskip(NEXT) | instid1(VALU_DEP_3)
	v_add_co_u32 v7, vcc_lo, v8, v7
	v_add_co_ci_u32_e32 v8, vcc_lo, 0, v10, vcc_lo
	s_delay_alu instid0(VALU_DEP_2) | instskip(NEXT) | instid1(VALU_DEP_2)
	v_add_co_u32 v5, vcc_lo, v5, v7
	v_add_co_ci_u32_e32 v6, vcc_lo, v6, v8, vcc_lo
	s_delay_alu instid0(VALU_DEP_2) | instskip(SKIP_1) | instid1(VALU_DEP_3)
	v_mul_hi_u32 v7, s2, v5
	v_mul_lo_u32 v10, s21, v5
	v_mul_lo_u32 v8, s2, v6
	s_delay_alu instid0(VALU_DEP_1) | instskip(SKIP_1) | instid1(VALU_DEP_2)
	v_add_nc_u32_e32 v7, v7, v8
	v_mul_lo_u32 v8, s2, v5
	v_add_nc_u32_e32 v7, v7, v10
	s_delay_alu instid0(VALU_DEP_2) | instskip(NEXT) | instid1(VALU_DEP_2)
	v_mul_hi_u32 v10, v5, v8
	v_mul_lo_u32 v12, v5, v7
	v_mul_hi_u32 v13, v5, v7
	v_mul_hi_u32 v30, v6, v8
	v_mul_lo_u32 v8, v6, v8
	v_mul_hi_u32 v31, v6, v7
	v_mul_lo_u32 v7, v6, v7
	v_add_co_u32 v10, vcc_lo, v10, v12
	v_add_co_ci_u32_e32 v12, vcc_lo, 0, v13, vcc_lo
	s_delay_alu instid0(VALU_DEP_2) | instskip(NEXT) | instid1(VALU_DEP_2)
	v_add_co_u32 v8, vcc_lo, v10, v8
	v_add_co_ci_u32_e32 v8, vcc_lo, v12, v30, vcc_lo
	v_add_co_ci_u32_e32 v10, vcc_lo, 0, v31, vcc_lo
	v_add_co_u32 v3, vcc_lo, v3, v29
	v_add_co_ci_u32_e32 v4, vcc_lo, v4, v29, vcc_lo
	s_delay_alu instid0(VALU_DEP_4) | instskip(NEXT) | instid1(VALU_DEP_4)
	v_add_co_u32 v7, vcc_lo, v8, v7
	v_add_co_ci_u32_e32 v8, vcc_lo, 0, v10, vcc_lo
	s_delay_alu instid0(VALU_DEP_4) | instskip(NEXT) | instid1(VALU_DEP_3)
	v_xor_b32_e32 v10, v3, v29
	v_add_co_u32 v7, vcc_lo, v5, v7
	s_delay_alu instid0(VALU_DEP_3) | instskip(SKIP_1) | instid1(VALU_DEP_3)
	v_add_co_ci_u32_e32 v12, vcc_lo, v6, v8, vcc_lo
	v_xor_b32_e32 v13, v4, v29
	v_mul_hi_u32 v30, v10, v7
	s_delay_alu instid0(VALU_DEP_3) | instskip(NEXT) | instid1(VALU_DEP_3)
	v_mad_u64_u32 v[3:4], null, v10, v12, 0
	v_mad_u64_u32 v[5:6], null, v13, v7, 0
	v_mad_u64_u32 v[7:8], null, v13, v12, 0
	s_delay_alu instid0(VALU_DEP_3) | instskip(NEXT) | instid1(VALU_DEP_4)
	v_add_co_u32 v3, vcc_lo, v30, v3
	v_add_co_ci_u32_e32 v4, vcc_lo, 0, v4, vcc_lo
	s_delay_alu instid0(VALU_DEP_2) | instskip(NEXT) | instid1(VALU_DEP_2)
	v_add_co_u32 v3, vcc_lo, v3, v5
	v_add_co_ci_u32_e32 v3, vcc_lo, v4, v6, vcc_lo
	v_add_co_ci_u32_e32 v4, vcc_lo, 0, v8, vcc_lo
	s_delay_alu instid0(VALU_DEP_2) | instskip(NEXT) | instid1(VALU_DEP_2)
	v_add_co_u32 v5, vcc_lo, v3, v7
	v_add_co_ci_u32_e32 v6, vcc_lo, 0, v4, vcc_lo
	s_delay_alu instid0(VALU_DEP_2) | instskip(SKIP_1) | instid1(VALU_DEP_3)
	v_mul_lo_u32 v7, s5, v5
	v_mad_u64_u32 v[3:4], null, s4, v5, 0
	v_mul_lo_u32 v6, s4, v6
	s_delay_alu instid0(VALU_DEP_2) | instskip(NEXT) | instid1(VALU_DEP_2)
	v_sub_co_u32 v3, vcc_lo, v10, v3
	v_add3_u32 v4, v4, v6, v7
	v_add_co_u32 v7, s2, v5, 2
	s_delay_alu instid0(VALU_DEP_2) | instskip(NEXT) | instid1(VALU_DEP_1)
	v_sub_nc_u32_e32 v6, v13, v4
	v_subrev_co_ci_u32_e64 v6, s2, s5, v6, vcc_lo
	v_sub_co_u32 v8, s2, v3, s4
	v_sub_co_ci_u32_e32 v4, vcc_lo, v13, v4, vcc_lo
	s_delay_alu instid0(VALU_DEP_3) | instskip(NEXT) | instid1(VALU_DEP_3)
	v_subrev_co_ci_u32_e64 v6, s2, 0, v6, s2
	v_cmp_le_u32_e32 vcc_lo, s4, v8
	v_cndmask_b32_e64 v8, 0, -1, vcc_lo
	s_delay_alu instid0(VALU_DEP_3)
	v_cmp_le_u32_e32 vcc_lo, s5, v6
	v_cndmask_b32_e64 v10, 0, -1, vcc_lo
	v_cmp_le_u32_e32 vcc_lo, s4, v3
	v_cndmask_b32_e64 v3, 0, -1, vcc_lo
	;; [unrolled: 2-line block ×3, first 2 shown]
	v_cmp_eq_u32_e32 vcc_lo, s5, v6
	v_cndmask_b32_e32 v6, v10, v8, vcc_lo
	v_add_co_u32 v8, vcc_lo, v5, 1
	v_cmp_eq_u32_e32 vcc_lo, s5, v4
	v_cndmask_b32_e32 v3, v12, v3, vcc_lo
	s_delay_alu instid0(VALU_DEP_4) | instskip(NEXT) | instid1(VALU_DEP_4)
	v_cmp_ne_u32_e32 vcc_lo, 0, v6
	v_cndmask_b32_e32 v4, v8, v7, vcc_lo
	s_delay_alu instid0(VALU_DEP_3) | instskip(NEXT) | instid1(VALU_DEP_2)
	v_cmp_ne_u32_e32 vcc_lo, 0, v3
	v_cndmask_b32_e32 v3, v5, v4, vcc_lo
	v_xor_b32_e32 v4, s20, v29
	s_delay_alu instid0(VALU_DEP_1) | instskip(NEXT) | instid1(VALU_DEP_1)
	v_xor_b32_e32 v3, v3, v4
	v_sub_co_u32 v7, vcc_lo, v3, v4
                                        ; implicit-def: $vgpr3
.LBB1_29:                               ;   in Loop: Header=BB1_9 Depth=2
	s_and_not1_saveexec_b32 s2, s23
; %bb.30:                               ;   in Loop: Header=BB1_9 Depth=2
	v_mul_hi_u32 v4, v3, v23
	s_delay_alu instid0(VALU_DEP_1) | instskip(NEXT) | instid1(VALU_DEP_1)
	v_mul_lo_u32 v5, v4, s6
	v_sub_nc_u32_e32 v3, v3, v5
	v_add_nc_u32_e32 v5, 1, v4
	s_delay_alu instid0(VALU_DEP_2) | instskip(SKIP_1) | instid1(VALU_DEP_2)
	v_subrev_nc_u32_e32 v6, s6, v3
	v_cmp_le_u32_e32 vcc_lo, s6, v3
	v_dual_cndmask_b32 v3, v3, v6 :: v_dual_cndmask_b32 v4, v4, v5
	s_delay_alu instid0(VALU_DEP_1) | instskip(NEXT) | instid1(VALU_DEP_2)
	v_cmp_le_u32_e32 vcc_lo, s6, v3
	v_add_nc_u32_e32 v5, 1, v4
	s_delay_alu instid0(VALU_DEP_1)
	v_cndmask_b32_e32 v7, v4, v5, vcc_lo
; %bb.31:                               ;   in Loop: Header=BB1_9 Depth=2
	s_or_b32 exec_lo, exec_lo, s2
.LBB1_32:                               ;   in Loop: Header=BB1_9 Depth=2
	s_delay_alu instid0(SALU_CYCLE_1)
	s_or_b32 exec_lo, exec_lo, s22
	s_and_saveexec_b32 s2, s3
	s_cbranch_execz .LBB1_34
; %bb.33:                               ;   in Loop: Header=BB1_9 Depth=2
	v_lshl_add_u32 v3, v7, 2, v22
	ds_add_u32 v3, v17
.LBB1_34:                               ;   in Loop: Header=BB1_9 Depth=2
	s_or_b32 exec_lo, exec_lo, s2
	s_waitcnt vmcnt(0)
	v_cmp_le_i64_e32 vcc_lo, s[16:17], v[1:2]
	v_cmp_gt_i64_e64 s2, s[18:19], v[1:2]
	s_delay_alu instid0(VALU_DEP_1) | instskip(NEXT) | instid1(SALU_CYCLE_1)
	s_and_b32 s31, vcc_lo, s2
	s_and_saveexec_b32 s3, s31
	s_cbranch_execz .LBB1_40
; %bb.35:                               ;   in Loop: Header=BB1_9 Depth=2
	v_sub_co_u32 v1, vcc_lo, v1, s16
	v_subrev_co_ci_u32_e32 v2, vcc_lo, s17, v2, vcc_lo
                                        ; implicit-def: $vgpr7_vgpr8
	s_mov_b32 s2, exec_lo
	s_delay_alu instid0(VALU_DEP_1) | instskip(NEXT) | instid1(VALU_DEP_1)
	v_or_b32_e32 v10, s7, v2
	v_cmpx_ne_u64_e32 0, v[9:10]
	s_xor_b32 s22, exec_lo, s2
	s_cbranch_execz .LBB1_37
; %bb.36:                               ;   in Loop: Header=BB1_9 Depth=2
	s_add_u32 s4, s6, s20
	s_mov_b32 s21, s20
	s_addc_u32 s5, s7, s20
	s_delay_alu instid0(SALU_CYCLE_1) | instskip(NEXT) | instid1(SALU_CYCLE_1)
	s_xor_b64 s[4:5], s[4:5], s[20:21]
	v_cvt_f32_u32_e32 v3, s4
	v_cvt_f32_u32_e32 v4, s5
	s_sub_u32 s2, 0, s4
	s_subb_u32 s21, 0, s5
	s_delay_alu instid0(VALU_DEP_1) | instskip(NEXT) | instid1(VALU_DEP_1)
	v_fmac_f32_e32 v3, 0x4f800000, v4
	v_rcp_f32_e32 v3, v3
	s_waitcnt_depctr 0xfff
	v_mul_f32_e32 v3, 0x5f7ffffc, v3
	s_delay_alu instid0(VALU_DEP_1) | instskip(NEXT) | instid1(VALU_DEP_1)
	v_mul_f32_e32 v4, 0x2f800000, v3
	v_trunc_f32_e32 v4, v4
	s_delay_alu instid0(VALU_DEP_1) | instskip(SKIP_1) | instid1(VALU_DEP_2)
	v_fmac_f32_e32 v3, 0xcf800000, v4
	v_cvt_u32_f32_e32 v4, v4
	v_cvt_u32_f32_e32 v3, v3
	s_delay_alu instid0(VALU_DEP_2) | instskip(NEXT) | instid1(VALU_DEP_2)
	v_mul_lo_u32 v5, s2, v4
	v_mul_hi_u32 v6, s2, v3
	v_mul_lo_u32 v7, s21, v3
	s_delay_alu instid0(VALU_DEP_2) | instskip(SKIP_1) | instid1(VALU_DEP_2)
	v_add_nc_u32_e32 v5, v6, v5
	v_mul_lo_u32 v6, s2, v3
	v_add_nc_u32_e32 v5, v5, v7
	s_delay_alu instid0(VALU_DEP_2) | instskip(NEXT) | instid1(VALU_DEP_2)
	v_mul_hi_u32 v7, v3, v6
	v_mul_lo_u32 v8, v3, v5
	v_mul_hi_u32 v10, v3, v5
	v_mul_hi_u32 v12, v4, v6
	v_mul_lo_u32 v6, v4, v6
	v_mul_hi_u32 v13, v4, v5
	v_mul_lo_u32 v5, v4, v5
	v_add_co_u32 v7, vcc_lo, v7, v8
	v_add_co_ci_u32_e32 v8, vcc_lo, 0, v10, vcc_lo
	s_delay_alu instid0(VALU_DEP_2) | instskip(NEXT) | instid1(VALU_DEP_2)
	v_add_co_u32 v6, vcc_lo, v7, v6
	v_add_co_ci_u32_e32 v6, vcc_lo, v8, v12, vcc_lo
	v_add_co_ci_u32_e32 v7, vcc_lo, 0, v13, vcc_lo
	v_ashrrev_i32_e32 v12, 31, v2
	s_delay_alu instid0(VALU_DEP_3) | instskip(NEXT) | instid1(VALU_DEP_3)
	v_add_co_u32 v5, vcc_lo, v6, v5
	v_add_co_ci_u32_e32 v6, vcc_lo, 0, v7, vcc_lo
	s_delay_alu instid0(VALU_DEP_2) | instskip(NEXT) | instid1(VALU_DEP_2)
	v_add_co_u32 v3, vcc_lo, v3, v5
	v_add_co_ci_u32_e32 v4, vcc_lo, v4, v6, vcc_lo
	s_delay_alu instid0(VALU_DEP_2) | instskip(SKIP_1) | instid1(VALU_DEP_3)
	v_mul_hi_u32 v5, s2, v3
	v_mul_lo_u32 v7, s21, v3
	v_mul_lo_u32 v6, s2, v4
	s_delay_alu instid0(VALU_DEP_1) | instskip(SKIP_1) | instid1(VALU_DEP_2)
	v_add_nc_u32_e32 v5, v5, v6
	v_mul_lo_u32 v6, s2, v3
	v_add_nc_u32_e32 v5, v5, v7
	s_delay_alu instid0(VALU_DEP_2) | instskip(NEXT) | instid1(VALU_DEP_2)
	v_mul_hi_u32 v7, v3, v6
	v_mul_lo_u32 v8, v3, v5
	v_mul_hi_u32 v10, v3, v5
	v_mul_hi_u32 v13, v4, v6
	v_mul_lo_u32 v6, v4, v6
	v_mul_hi_u32 v29, v4, v5
	v_mul_lo_u32 v5, v4, v5
	v_add_co_u32 v7, vcc_lo, v7, v8
	v_add_co_ci_u32_e32 v8, vcc_lo, 0, v10, vcc_lo
	s_delay_alu instid0(VALU_DEP_2) | instskip(NEXT) | instid1(VALU_DEP_2)
	v_add_co_u32 v6, vcc_lo, v7, v6
	v_add_co_ci_u32_e32 v6, vcc_lo, v8, v13, vcc_lo
	v_add_co_ci_u32_e32 v7, vcc_lo, 0, v29, vcc_lo
	v_add_co_u32 v1, vcc_lo, v1, v12
	v_add_co_ci_u32_e32 v2, vcc_lo, v2, v12, vcc_lo
	s_delay_alu instid0(VALU_DEP_4) | instskip(NEXT) | instid1(VALU_DEP_4)
	v_add_co_u32 v5, vcc_lo, v6, v5
	v_add_co_ci_u32_e32 v6, vcc_lo, 0, v7, vcc_lo
	s_delay_alu instid0(VALU_DEP_4) | instskip(NEXT) | instid1(VALU_DEP_3)
	v_xor_b32_e32 v7, v1, v12
	v_add_co_u32 v5, vcc_lo, v3, v5
	s_delay_alu instid0(VALU_DEP_3) | instskip(SKIP_1) | instid1(VALU_DEP_3)
	v_add_co_ci_u32_e32 v8, vcc_lo, v4, v6, vcc_lo
	v_xor_b32_e32 v10, v2, v12
	v_mul_hi_u32 v13, v7, v5
	s_delay_alu instid0(VALU_DEP_3) | instskip(NEXT) | instid1(VALU_DEP_3)
	v_mad_u64_u32 v[1:2], null, v7, v8, 0
	v_mad_u64_u32 v[3:4], null, v10, v5, 0
	;; [unrolled: 1-line block ×3, first 2 shown]
	s_delay_alu instid0(VALU_DEP_3) | instskip(NEXT) | instid1(VALU_DEP_4)
	v_add_co_u32 v1, vcc_lo, v13, v1
	v_add_co_ci_u32_e32 v2, vcc_lo, 0, v2, vcc_lo
	s_delay_alu instid0(VALU_DEP_2) | instskip(NEXT) | instid1(VALU_DEP_2)
	v_add_co_u32 v1, vcc_lo, v1, v3
	v_add_co_ci_u32_e32 v1, vcc_lo, v2, v4, vcc_lo
	v_add_co_ci_u32_e32 v2, vcc_lo, 0, v6, vcc_lo
	s_delay_alu instid0(VALU_DEP_2) | instskip(NEXT) | instid1(VALU_DEP_2)
	v_add_co_u32 v3, vcc_lo, v1, v5
	v_add_co_ci_u32_e32 v4, vcc_lo, 0, v2, vcc_lo
	s_delay_alu instid0(VALU_DEP_2) | instskip(SKIP_1) | instid1(VALU_DEP_3)
	v_mul_lo_u32 v5, s5, v3
	v_mad_u64_u32 v[1:2], null, s4, v3, 0
	v_mul_lo_u32 v4, s4, v4
	s_delay_alu instid0(VALU_DEP_2) | instskip(NEXT) | instid1(VALU_DEP_2)
	v_sub_co_u32 v1, vcc_lo, v7, v1
	v_add3_u32 v2, v2, v4, v5
	v_add_co_u32 v5, s2, v3, 2
	s_delay_alu instid0(VALU_DEP_2) | instskip(NEXT) | instid1(VALU_DEP_1)
	v_sub_nc_u32_e32 v4, v10, v2
	v_subrev_co_ci_u32_e64 v4, s2, s5, v4, vcc_lo
	v_sub_co_u32 v6, s2, v1, s4
	v_sub_co_ci_u32_e32 v2, vcc_lo, v10, v2, vcc_lo
	s_delay_alu instid0(VALU_DEP_3) | instskip(NEXT) | instid1(VALU_DEP_3)
	v_subrev_co_ci_u32_e64 v4, s2, 0, v4, s2
	v_cmp_le_u32_e32 vcc_lo, s4, v6
	v_cndmask_b32_e64 v6, 0, -1, vcc_lo
	s_delay_alu instid0(VALU_DEP_3)
	v_cmp_le_u32_e32 vcc_lo, s5, v4
	v_cndmask_b32_e64 v7, 0, -1, vcc_lo
	v_cmp_le_u32_e32 vcc_lo, s4, v1
	v_cndmask_b32_e64 v1, 0, -1, vcc_lo
	;; [unrolled: 2-line block ×3, first 2 shown]
	v_cmp_eq_u32_e32 vcc_lo, s5, v4
	v_cndmask_b32_e32 v4, v7, v6, vcc_lo
	v_add_co_u32 v6, vcc_lo, v3, 1
	v_cmp_eq_u32_e32 vcc_lo, s5, v2
	v_cndmask_b32_e32 v1, v8, v1, vcc_lo
	s_delay_alu instid0(VALU_DEP_4) | instskip(NEXT) | instid1(VALU_DEP_4)
	v_cmp_ne_u32_e32 vcc_lo, 0, v4
	v_cndmask_b32_e32 v2, v6, v5, vcc_lo
	s_delay_alu instid0(VALU_DEP_3) | instskip(NEXT) | instid1(VALU_DEP_2)
	v_cmp_ne_u32_e32 vcc_lo, 0, v1
	v_cndmask_b32_e32 v1, v3, v2, vcc_lo
	v_xor_b32_e32 v2, s20, v12
	s_delay_alu instid0(VALU_DEP_1) | instskip(NEXT) | instid1(VALU_DEP_1)
	v_xor_b32_e32 v1, v1, v2
	v_sub_co_u32 v7, vcc_lo, v1, v2
                                        ; implicit-def: $vgpr1
.LBB1_37:                               ;   in Loop: Header=BB1_9 Depth=2
	s_and_not1_saveexec_b32 s2, s22
; %bb.38:                               ;   in Loop: Header=BB1_9 Depth=2
	v_mul_hi_u32 v2, v1, v23
	s_delay_alu instid0(VALU_DEP_1) | instskip(NEXT) | instid1(VALU_DEP_1)
	v_mul_lo_u32 v3, v2, s6
	v_sub_nc_u32_e32 v1, v1, v3
	v_add_nc_u32_e32 v3, 1, v2
	s_delay_alu instid0(VALU_DEP_2) | instskip(SKIP_1) | instid1(VALU_DEP_2)
	v_subrev_nc_u32_e32 v4, s6, v1
	v_cmp_le_u32_e32 vcc_lo, s6, v1
	v_dual_cndmask_b32 v1, v1, v4 :: v_dual_cndmask_b32 v2, v2, v3
	s_delay_alu instid0(VALU_DEP_1) | instskip(NEXT) | instid1(VALU_DEP_2)
	v_cmp_le_u32_e32 vcc_lo, s6, v1
	v_add_nc_u32_e32 v3, 1, v2
	s_delay_alu instid0(VALU_DEP_1)
	v_cndmask_b32_e32 v7, v2, v3, vcc_lo
; %bb.39:                               ;   in Loop: Header=BB1_9 Depth=2
	s_or_b32 exec_lo, exec_lo, s2
.LBB1_40:                               ;   in Loop: Header=BB1_9 Depth=2
	s_delay_alu instid0(SALU_CYCLE_1)
	s_or_b32 exec_lo, exec_lo, s3
.LBB1_41:                               ;   in Loop: Header=BB1_9 Depth=2
	s_delay_alu instid0(VALU_DEP_1)
	v_mov_b32_e32 v1, v7
	v_mov_b32_e32 v24, v7
	s_and_saveexec_b32 s2, s31
	s_cbranch_execz .LBB1_8
	s_branch .LBB1_90
.LBB1_42:                               ;   in Loop: Header=BB1_9 Depth=2
	s_mov_b32 s31, 0
                                        ; implicit-def: $vgpr7
	s_cbranch_execz .LBB1_41
; %bb.43:                               ;   in Loop: Header=BB1_9 Depth=2
	s_lshl_b64 s[2:3], s[14:15], 3
                                        ; implicit-def: $vgpr1_vgpr2_vgpr3_vgpr4_vgpr5_vgpr6_vgpr7_vgpr8
	s_delay_alu instid0(SALU_CYCLE_1)
	v_add_co_u32 v12, vcc_lo, v27, s2
	v_add_co_ci_u32_e32 v13, vcc_lo, s3, v28, vcc_lo
	v_cmp_gt_u32_e32 vcc_lo, s30, v15
	s_and_saveexec_b32 s2, vcc_lo
	s_cbranch_execnz .LBB1_51
; %bb.44:                               ;   in Loop: Header=BB1_9 Depth=2
	s_or_b32 exec_lo, exec_lo, s2
	v_cmp_gt_u32_e64 s4, s30, v18
	s_delay_alu instid0(VALU_DEP_1)
	s_and_saveexec_b32 s2, s4
	s_cbranch_execnz .LBB1_52
.LBB1_45:                               ;   in Loop: Header=BB1_9 Depth=2
	s_or_b32 exec_lo, exec_lo, s2
	v_cmp_gt_u32_e64 s3, s30, v19
	s_delay_alu instid0(VALU_DEP_1)
	s_and_saveexec_b32 s2, s3
	s_cbranch_execnz .LBB1_53
.LBB1_46:                               ;   in Loop: Header=BB1_9 Depth=2
	s_or_b32 exec_lo, exec_lo, s2
	v_cmp_gt_u32_e64 s2, s30, v20
	s_delay_alu instid0(VALU_DEP_1)
	s_and_saveexec_b32 s5, s2
	s_cbranch_execnz .LBB1_54
.LBB1_47:                               ;   in Loop: Header=BB1_9 Depth=2
	s_or_b32 exec_lo, exec_lo, s5
	s_and_saveexec_b32 s33, vcc_lo
	s_cbranch_execnz .LBB1_55
.LBB1_48:                               ;   in Loop: Header=BB1_9 Depth=2
	s_or_b32 exec_lo, exec_lo, s33
	s_and_saveexec_b32 s5, s4
	s_cbranch_execnz .LBB1_64
.LBB1_49:                               ;   in Loop: Header=BB1_9 Depth=2
	s_or_b32 exec_lo, exec_lo, s5
	s_and_saveexec_b32 s22, s3
	s_cbranch_execnz .LBB1_73
.LBB1_50:                               ;   in Loop: Header=BB1_9 Depth=2
	s_or_b32 exec_lo, exec_lo, s22
	s_and_saveexec_b32 s3, s2
	s_cbranch_execnz .LBB1_82
	s_branch .LBB1_89
.LBB1_51:                               ;   in Loop: Header=BB1_9 Depth=2
	global_load_b64 v[1:2], v[12:13], off
	s_or_b32 exec_lo, exec_lo, s2
	v_cmp_gt_u32_e64 s4, s30, v18
	s_delay_alu instid0(VALU_DEP_1)
	s_and_saveexec_b32 s2, s4
	s_cbranch_execz .LBB1_45
.LBB1_52:                               ;   in Loop: Header=BB1_9 Depth=2
	global_load_b64 v[3:4], v[12:13], off offset:8
	s_or_b32 exec_lo, exec_lo, s2
	v_cmp_gt_u32_e64 s3, s30, v19
	s_delay_alu instid0(VALU_DEP_1)
	s_and_saveexec_b32 s2, s3
	s_cbranch_execz .LBB1_46
.LBB1_53:                               ;   in Loop: Header=BB1_9 Depth=2
	global_load_b64 v[5:6], v[12:13], off offset:16
	s_or_b32 exec_lo, exec_lo, s2
	v_cmp_gt_u32_e64 s2, s30, v20
	s_delay_alu instid0(VALU_DEP_1)
	s_and_saveexec_b32 s5, s2
	s_cbranch_execz .LBB1_47
.LBB1_54:                               ;   in Loop: Header=BB1_9 Depth=2
	global_load_b64 v[7:8], v[12:13], off offset:24
	s_or_b32 exec_lo, exec_lo, s5
	s_and_saveexec_b32 s33, vcc_lo
	s_cbranch_execz .LBB1_48
.LBB1_55:                               ;   in Loop: Header=BB1_9 Depth=2
	s_waitcnt vmcnt(0)
	v_cmp_le_i64_e32 vcc_lo, s[16:17], v[1:2]
	v_cmp_gt_i64_e64 s5, s[18:19], v[1:2]
	s_delay_alu instid0(VALU_DEP_1) | instskip(NEXT) | instid1(SALU_CYCLE_1)
	s_and_b32 s34, vcc_lo, s5
	s_and_saveexec_b32 s35, s34
	s_cbranch_execz .LBB1_61
; %bb.56:                               ;   in Loop: Header=BB1_9 Depth=2
	v_sub_co_u32 v1, vcc_lo, v1, s16
	v_subrev_co_ci_u32_e32 v2, vcc_lo, s17, v2, vcc_lo
                                        ; implicit-def: $vgpr11_vgpr12
	s_mov_b32 s5, exec_lo
	s_delay_alu instid0(VALU_DEP_1) | instskip(NEXT) | instid1(VALU_DEP_1)
	v_or_b32_e32 v10, s7, v2
	v_cmpx_ne_u64_e32 0, v[9:10]
	s_xor_b32 s36, exec_lo, s5
	s_cbranch_execz .LBB1_58
; %bb.57:                               ;   in Loop: Header=BB1_9 Depth=2
	s_add_u32 s22, s6, s20
	s_mov_b32 s21, s20
	s_addc_u32 s23, s7, s20
	s_delay_alu instid0(SALU_CYCLE_1) | instskip(NEXT) | instid1(SALU_CYCLE_1)
	s_xor_b64 s[22:23], s[22:23], s[20:21]
	v_cvt_f32_u32_e32 v10, s22
	v_cvt_f32_u32_e32 v11, s23
	s_sub_u32 s5, 0, s22
	s_subb_u32 s21, 0, s23
	s_delay_alu instid0(VALU_DEP_1) | instskip(NEXT) | instid1(VALU_DEP_1)
	v_fmac_f32_e32 v10, 0x4f800000, v11
	v_rcp_f32_e32 v10, v10
	s_waitcnt_depctr 0xfff
	v_mul_f32_e32 v10, 0x5f7ffffc, v10
	s_delay_alu instid0(VALU_DEP_1) | instskip(NEXT) | instid1(VALU_DEP_1)
	v_mul_f32_e32 v11, 0x2f800000, v10
	v_trunc_f32_e32 v11, v11
	s_delay_alu instid0(VALU_DEP_1) | instskip(SKIP_1) | instid1(VALU_DEP_2)
	v_fmac_f32_e32 v10, 0xcf800000, v11
	v_cvt_u32_f32_e32 v11, v11
	v_cvt_u32_f32_e32 v10, v10
	s_delay_alu instid0(VALU_DEP_2) | instskip(NEXT) | instid1(VALU_DEP_2)
	v_mul_lo_u32 v12, s5, v11
	v_mul_hi_u32 v13, s5, v10
	v_mul_lo_u32 v29, s21, v10
	s_delay_alu instid0(VALU_DEP_2) | instskip(SKIP_1) | instid1(VALU_DEP_2)
	v_add_nc_u32_e32 v12, v13, v12
	v_mul_lo_u32 v13, s5, v10
	v_add_nc_u32_e32 v12, v12, v29
	s_delay_alu instid0(VALU_DEP_2) | instskip(NEXT) | instid1(VALU_DEP_2)
	v_mul_hi_u32 v29, v10, v13
	v_mul_lo_u32 v30, v10, v12
	v_mul_hi_u32 v31, v10, v12
	v_mul_hi_u32 v32, v11, v13
	v_mul_lo_u32 v13, v11, v13
	v_mul_hi_u32 v33, v11, v12
	v_mul_lo_u32 v12, v11, v12
	v_add_co_u32 v29, vcc_lo, v29, v30
	v_add_co_ci_u32_e32 v30, vcc_lo, 0, v31, vcc_lo
	s_delay_alu instid0(VALU_DEP_2) | instskip(NEXT) | instid1(VALU_DEP_2)
	v_add_co_u32 v13, vcc_lo, v29, v13
	v_add_co_ci_u32_e32 v13, vcc_lo, v30, v32, vcc_lo
	v_add_co_ci_u32_e32 v29, vcc_lo, 0, v33, vcc_lo
	v_ashrrev_i32_e32 v32, 31, v2
	s_delay_alu instid0(VALU_DEP_3) | instskip(NEXT) | instid1(VALU_DEP_3)
	v_add_co_u32 v12, vcc_lo, v13, v12
	v_add_co_ci_u32_e32 v13, vcc_lo, 0, v29, vcc_lo
	s_delay_alu instid0(VALU_DEP_2) | instskip(NEXT) | instid1(VALU_DEP_2)
	v_add_co_u32 v10, vcc_lo, v10, v12
	v_add_co_ci_u32_e32 v11, vcc_lo, v11, v13, vcc_lo
	s_delay_alu instid0(VALU_DEP_2) | instskip(SKIP_1) | instid1(VALU_DEP_3)
	v_mul_hi_u32 v12, s5, v10
	v_mul_lo_u32 v29, s21, v10
	v_mul_lo_u32 v13, s5, v11
	s_delay_alu instid0(VALU_DEP_1) | instskip(SKIP_1) | instid1(VALU_DEP_2)
	v_add_nc_u32_e32 v12, v12, v13
	v_mul_lo_u32 v13, s5, v10
	v_add_nc_u32_e32 v12, v12, v29
	s_delay_alu instid0(VALU_DEP_2) | instskip(NEXT) | instid1(VALU_DEP_2)
	v_mul_hi_u32 v29, v10, v13
	v_mul_lo_u32 v30, v10, v12
	v_mul_hi_u32 v31, v10, v12
	v_mul_hi_u32 v33, v11, v13
	v_mul_lo_u32 v13, v11, v13
	v_mul_hi_u32 v34, v11, v12
	v_mul_lo_u32 v12, v11, v12
	v_add_co_u32 v29, vcc_lo, v29, v30
	v_add_co_ci_u32_e32 v30, vcc_lo, 0, v31, vcc_lo
	s_delay_alu instid0(VALU_DEP_2) | instskip(NEXT) | instid1(VALU_DEP_2)
	v_add_co_u32 v13, vcc_lo, v29, v13
	v_add_co_ci_u32_e32 v13, vcc_lo, v30, v33, vcc_lo
	v_add_co_ci_u32_e32 v29, vcc_lo, 0, v34, vcc_lo
	v_add_co_u32 v1, vcc_lo, v1, v32
	v_add_co_ci_u32_e32 v2, vcc_lo, v2, v32, vcc_lo
	s_delay_alu instid0(VALU_DEP_4) | instskip(NEXT) | instid1(VALU_DEP_4)
	v_add_co_u32 v12, vcc_lo, v13, v12
	v_add_co_ci_u32_e32 v13, vcc_lo, 0, v29, vcc_lo
	s_delay_alu instid0(VALU_DEP_4) | instskip(NEXT) | instid1(VALU_DEP_3)
	v_xor_b32_e32 v29, v1, v32
	v_add_co_u32 v12, vcc_lo, v10, v12
	s_delay_alu instid0(VALU_DEP_3) | instskip(SKIP_1) | instid1(VALU_DEP_3)
	v_add_co_ci_u32_e32 v30, vcc_lo, v11, v13, vcc_lo
	v_xor_b32_e32 v31, v2, v32
	v_mul_hi_u32 v33, v29, v12
	s_delay_alu instid0(VALU_DEP_3) | instskip(NEXT) | instid1(VALU_DEP_3)
	v_mad_u64_u32 v[1:2], null, v29, v30, 0
	v_mad_u64_u32 v[10:11], null, v31, v12, 0
	;; [unrolled: 1-line block ×3, first 2 shown]
	s_delay_alu instid0(VALU_DEP_3) | instskip(NEXT) | instid1(VALU_DEP_4)
	v_add_co_u32 v1, vcc_lo, v33, v1
	v_add_co_ci_u32_e32 v2, vcc_lo, 0, v2, vcc_lo
	s_delay_alu instid0(VALU_DEP_2) | instskip(NEXT) | instid1(VALU_DEP_2)
	v_add_co_u32 v1, vcc_lo, v1, v10
	v_add_co_ci_u32_e32 v1, vcc_lo, v2, v11, vcc_lo
	v_add_co_ci_u32_e32 v2, vcc_lo, 0, v13, vcc_lo
	s_delay_alu instid0(VALU_DEP_2) | instskip(NEXT) | instid1(VALU_DEP_2)
	v_add_co_u32 v10, vcc_lo, v1, v12
	v_add_co_ci_u32_e32 v11, vcc_lo, 0, v2, vcc_lo
	s_delay_alu instid0(VALU_DEP_2) | instskip(SKIP_1) | instid1(VALU_DEP_3)
	v_mul_lo_u32 v12, s23, v10
	v_mad_u64_u32 v[1:2], null, s22, v10, 0
	v_mul_lo_u32 v11, s22, v11
	s_delay_alu instid0(VALU_DEP_2) | instskip(NEXT) | instid1(VALU_DEP_2)
	v_sub_co_u32 v1, vcc_lo, v29, v1
	v_add3_u32 v2, v2, v11, v12
	v_add_co_u32 v12, s5, v10, 2
	s_delay_alu instid0(VALU_DEP_2) | instskip(NEXT) | instid1(VALU_DEP_1)
	v_sub_nc_u32_e32 v11, v31, v2
	v_subrev_co_ci_u32_e64 v11, s5, s23, v11, vcc_lo
	v_sub_co_u32 v13, s5, v1, s22
	v_sub_co_ci_u32_e32 v2, vcc_lo, v31, v2, vcc_lo
	s_delay_alu instid0(VALU_DEP_3) | instskip(NEXT) | instid1(VALU_DEP_3)
	v_subrev_co_ci_u32_e64 v11, s5, 0, v11, s5
	v_cmp_le_u32_e32 vcc_lo, s22, v13
	v_cndmask_b32_e64 v13, 0, -1, vcc_lo
	s_delay_alu instid0(VALU_DEP_3)
	v_cmp_le_u32_e32 vcc_lo, s23, v11
	v_cndmask_b32_e64 v29, 0, -1, vcc_lo
	v_cmp_le_u32_e32 vcc_lo, s22, v1
	v_cndmask_b32_e64 v1, 0, -1, vcc_lo
	v_cmp_le_u32_e32 vcc_lo, s23, v2
	v_cndmask_b32_e64 v30, 0, -1, vcc_lo
	v_cmp_eq_u32_e32 vcc_lo, s23, v11
	v_cndmask_b32_e32 v11, v29, v13, vcc_lo
	v_add_co_u32 v13, vcc_lo, v10, 1
	v_cmp_eq_u32_e32 vcc_lo, s23, v2
	v_cndmask_b32_e32 v1, v30, v1, vcc_lo
	s_delay_alu instid0(VALU_DEP_4) | instskip(NEXT) | instid1(VALU_DEP_4)
	v_cmp_ne_u32_e32 vcc_lo, 0, v11
	v_cndmask_b32_e32 v2, v13, v12, vcc_lo
	s_delay_alu instid0(VALU_DEP_3) | instskip(NEXT) | instid1(VALU_DEP_2)
	v_cmp_ne_u32_e32 vcc_lo, 0, v1
	v_cndmask_b32_e32 v1, v10, v2, vcc_lo
	v_xor_b32_e32 v2, s20, v32
	s_delay_alu instid0(VALU_DEP_1) | instskip(NEXT) | instid1(VALU_DEP_1)
	v_xor_b32_e32 v1, v1, v2
	v_sub_co_u32 v11, vcc_lo, v1, v2
                                        ; implicit-def: $vgpr1
.LBB1_58:                               ;   in Loop: Header=BB1_9 Depth=2
	s_and_not1_saveexec_b32 s5, s36
; %bb.59:                               ;   in Loop: Header=BB1_9 Depth=2
	v_mul_hi_u32 v2, v1, v23
	s_delay_alu instid0(VALU_DEP_1) | instskip(NEXT) | instid1(VALU_DEP_1)
	v_mul_lo_u32 v10, v2, s6
	v_sub_nc_u32_e32 v1, v1, v10
	s_delay_alu instid0(VALU_DEP_1) | instskip(SKIP_1) | instid1(VALU_DEP_2)
	v_subrev_nc_u32_e32 v11, s6, v1
	v_cmp_le_u32_e32 vcc_lo, s6, v1
	v_dual_cndmask_b32 v1, v1, v11 :: v_dual_add_nc_u32 v10, 1, v2
	s_delay_alu instid0(VALU_DEP_1) | instskip(NEXT) | instid1(VALU_DEP_2)
	v_cndmask_b32_e32 v2, v2, v10, vcc_lo
	v_cmp_le_u32_e32 vcc_lo, s6, v1
	s_delay_alu instid0(VALU_DEP_2) | instskip(NEXT) | instid1(VALU_DEP_1)
	v_add_nc_u32_e32 v10, 1, v2
	v_cndmask_b32_e32 v11, v2, v10, vcc_lo
; %bb.60:                               ;   in Loop: Header=BB1_9 Depth=2
	s_or_b32 exec_lo, exec_lo, s5
.LBB1_61:                               ;   in Loop: Header=BB1_9 Depth=2
	s_delay_alu instid0(SALU_CYCLE_1)
	s_or_b32 exec_lo, exec_lo, s35
	s_and_saveexec_b32 s5, s34
	s_cbranch_execz .LBB1_63
; %bb.62:                               ;   in Loop: Header=BB1_9 Depth=2
	v_lshl_add_u32 v1, v11, 2, v22
	ds_add_u32 v1, v17
.LBB1_63:                               ;   in Loop: Header=BB1_9 Depth=2
	s_or_b32 exec_lo, exec_lo, s5
	s_delay_alu instid0(SALU_CYCLE_1)
	s_or_b32 exec_lo, exec_lo, s33
	s_and_saveexec_b32 s5, s4
	s_cbranch_execz .LBB1_49
.LBB1_64:                               ;   in Loop: Header=BB1_9 Depth=2
	s_waitcnt vmcnt(0)
	v_cmp_le_i64_e32 vcc_lo, s[16:17], v[3:4]
	v_cmp_gt_i64_e64 s4, s[18:19], v[3:4]
	s_delay_alu instid0(VALU_DEP_1) | instskip(NEXT) | instid1(SALU_CYCLE_1)
	s_and_b32 s33, vcc_lo, s4
	s_and_saveexec_b32 s34, s33
	s_cbranch_execz .LBB1_70
; %bb.65:                               ;   in Loop: Header=BB1_9 Depth=2
	v_sub_co_u32 v1, vcc_lo, v3, s16
	v_subrev_co_ci_u32_e32 v2, vcc_lo, s17, v4, vcc_lo
                                        ; implicit-def: $vgpr11_vgpr12
	s_mov_b32 s4, exec_lo
	s_delay_alu instid0(VALU_DEP_1) | instskip(NEXT) | instid1(VALU_DEP_1)
	v_or_b32_e32 v10, s7, v2
	v_cmpx_ne_u64_e32 0, v[9:10]
	s_xor_b32 s35, exec_lo, s4
	s_cbranch_execz .LBB1_67
; %bb.66:                               ;   in Loop: Header=BB1_9 Depth=2
	s_add_u32 s22, s6, s20
	s_mov_b32 s21, s20
	s_addc_u32 s23, s7, s20
	s_delay_alu instid0(SALU_CYCLE_1) | instskip(NEXT) | instid1(SALU_CYCLE_1)
	s_xor_b64 s[22:23], s[22:23], s[20:21]
	v_cvt_f32_u32_e32 v3, s22
	v_cvt_f32_u32_e32 v4, s23
	s_sub_u32 s4, 0, s22
	s_subb_u32 s21, 0, s23
	s_delay_alu instid0(VALU_DEP_1) | instskip(NEXT) | instid1(VALU_DEP_1)
	v_fmac_f32_e32 v3, 0x4f800000, v4
	v_rcp_f32_e32 v3, v3
	s_waitcnt_depctr 0xfff
	v_mul_f32_e32 v3, 0x5f7ffffc, v3
	s_delay_alu instid0(VALU_DEP_1) | instskip(NEXT) | instid1(VALU_DEP_1)
	v_mul_f32_e32 v4, 0x2f800000, v3
	v_trunc_f32_e32 v4, v4
	s_delay_alu instid0(VALU_DEP_1) | instskip(SKIP_1) | instid1(VALU_DEP_2)
	v_fmac_f32_e32 v3, 0xcf800000, v4
	v_cvt_u32_f32_e32 v4, v4
	v_cvt_u32_f32_e32 v3, v3
	s_delay_alu instid0(VALU_DEP_2) | instskip(NEXT) | instid1(VALU_DEP_2)
	v_mul_lo_u32 v10, s4, v4
	v_mul_hi_u32 v11, s4, v3
	v_mul_lo_u32 v12, s21, v3
	s_delay_alu instid0(VALU_DEP_2) | instskip(SKIP_1) | instid1(VALU_DEP_2)
	v_add_nc_u32_e32 v10, v11, v10
	v_mul_lo_u32 v11, s4, v3
	v_add_nc_u32_e32 v10, v10, v12
	s_delay_alu instid0(VALU_DEP_2) | instskip(NEXT) | instid1(VALU_DEP_2)
	v_mul_hi_u32 v12, v3, v11
	v_mul_lo_u32 v13, v3, v10
	v_mul_hi_u32 v29, v3, v10
	v_mul_hi_u32 v30, v4, v11
	v_mul_lo_u32 v11, v4, v11
	v_mul_hi_u32 v31, v4, v10
	v_mul_lo_u32 v10, v4, v10
	v_add_co_u32 v12, vcc_lo, v12, v13
	v_add_co_ci_u32_e32 v13, vcc_lo, 0, v29, vcc_lo
	s_delay_alu instid0(VALU_DEP_2) | instskip(NEXT) | instid1(VALU_DEP_2)
	v_add_co_u32 v11, vcc_lo, v12, v11
	v_add_co_ci_u32_e32 v11, vcc_lo, v13, v30, vcc_lo
	v_add_co_ci_u32_e32 v12, vcc_lo, 0, v31, vcc_lo
	v_ashrrev_i32_e32 v30, 31, v2
	s_delay_alu instid0(VALU_DEP_3) | instskip(NEXT) | instid1(VALU_DEP_3)
	v_add_co_u32 v10, vcc_lo, v11, v10
	v_add_co_ci_u32_e32 v11, vcc_lo, 0, v12, vcc_lo
	s_delay_alu instid0(VALU_DEP_2) | instskip(NEXT) | instid1(VALU_DEP_2)
	v_add_co_u32 v3, vcc_lo, v3, v10
	v_add_co_ci_u32_e32 v4, vcc_lo, v4, v11, vcc_lo
	s_delay_alu instid0(VALU_DEP_2) | instskip(SKIP_1) | instid1(VALU_DEP_3)
	v_mul_hi_u32 v10, s4, v3
	v_mul_lo_u32 v12, s21, v3
	v_mul_lo_u32 v11, s4, v4
	s_delay_alu instid0(VALU_DEP_1) | instskip(SKIP_1) | instid1(VALU_DEP_2)
	v_add_nc_u32_e32 v10, v10, v11
	v_mul_lo_u32 v11, s4, v3
	v_add_nc_u32_e32 v10, v10, v12
	s_delay_alu instid0(VALU_DEP_2) | instskip(NEXT) | instid1(VALU_DEP_2)
	v_mul_hi_u32 v12, v3, v11
	v_mul_lo_u32 v13, v3, v10
	v_mul_hi_u32 v29, v3, v10
	v_mul_hi_u32 v31, v4, v11
	v_mul_lo_u32 v11, v4, v11
	v_mul_hi_u32 v32, v4, v10
	v_mul_lo_u32 v10, v4, v10
	v_add_co_u32 v12, vcc_lo, v12, v13
	v_add_co_ci_u32_e32 v13, vcc_lo, 0, v29, vcc_lo
	s_delay_alu instid0(VALU_DEP_2) | instskip(NEXT) | instid1(VALU_DEP_2)
	v_add_co_u32 v11, vcc_lo, v12, v11
	v_add_co_ci_u32_e32 v11, vcc_lo, v13, v31, vcc_lo
	v_add_co_ci_u32_e32 v12, vcc_lo, 0, v32, vcc_lo
	v_add_co_u32 v1, vcc_lo, v1, v30
	v_add_co_ci_u32_e32 v2, vcc_lo, v2, v30, vcc_lo
	s_delay_alu instid0(VALU_DEP_4) | instskip(NEXT) | instid1(VALU_DEP_4)
	v_add_co_u32 v10, vcc_lo, v11, v10
	v_add_co_ci_u32_e32 v11, vcc_lo, 0, v12, vcc_lo
	s_delay_alu instid0(VALU_DEP_4) | instskip(NEXT) | instid1(VALU_DEP_3)
	v_xor_b32_e32 v12, v1, v30
	v_add_co_u32 v10, vcc_lo, v3, v10
	s_delay_alu instid0(VALU_DEP_3) | instskip(SKIP_1) | instid1(VALU_DEP_3)
	v_add_co_ci_u32_e32 v13, vcc_lo, v4, v11, vcc_lo
	v_xor_b32_e32 v29, v2, v30
	v_mul_hi_u32 v31, v12, v10
	s_delay_alu instid0(VALU_DEP_3) | instskip(NEXT) | instid1(VALU_DEP_3)
	v_mad_u64_u32 v[1:2], null, v12, v13, 0
	v_mad_u64_u32 v[3:4], null, v29, v10, 0
	;; [unrolled: 1-line block ×3, first 2 shown]
	s_delay_alu instid0(VALU_DEP_3) | instskip(NEXT) | instid1(VALU_DEP_4)
	v_add_co_u32 v1, vcc_lo, v31, v1
	v_add_co_ci_u32_e32 v2, vcc_lo, 0, v2, vcc_lo
	s_delay_alu instid0(VALU_DEP_2) | instskip(NEXT) | instid1(VALU_DEP_2)
	v_add_co_u32 v1, vcc_lo, v1, v3
	v_add_co_ci_u32_e32 v1, vcc_lo, v2, v4, vcc_lo
	v_add_co_ci_u32_e32 v2, vcc_lo, 0, v11, vcc_lo
	s_delay_alu instid0(VALU_DEP_2) | instskip(NEXT) | instid1(VALU_DEP_2)
	v_add_co_u32 v3, vcc_lo, v1, v10
	v_add_co_ci_u32_e32 v4, vcc_lo, 0, v2, vcc_lo
	s_delay_alu instid0(VALU_DEP_2) | instskip(SKIP_1) | instid1(VALU_DEP_3)
	v_mul_lo_u32 v10, s23, v3
	v_mad_u64_u32 v[1:2], null, s22, v3, 0
	v_mul_lo_u32 v4, s22, v4
	s_delay_alu instid0(VALU_DEP_2) | instskip(NEXT) | instid1(VALU_DEP_2)
	v_sub_co_u32 v1, vcc_lo, v12, v1
	v_add3_u32 v2, v2, v4, v10
	v_add_co_u32 v10, s4, v3, 2
	s_delay_alu instid0(VALU_DEP_2) | instskip(NEXT) | instid1(VALU_DEP_1)
	v_sub_nc_u32_e32 v4, v29, v2
	v_subrev_co_ci_u32_e64 v4, s4, s23, v4, vcc_lo
	v_sub_co_u32 v11, s4, v1, s22
	v_sub_co_ci_u32_e32 v2, vcc_lo, v29, v2, vcc_lo
	s_delay_alu instid0(VALU_DEP_3) | instskip(NEXT) | instid1(VALU_DEP_3)
	v_subrev_co_ci_u32_e64 v4, s4, 0, v4, s4
	v_cmp_le_u32_e32 vcc_lo, s22, v11
	v_cndmask_b32_e64 v11, 0, -1, vcc_lo
	s_delay_alu instid0(VALU_DEP_3)
	v_cmp_le_u32_e32 vcc_lo, s23, v4
	v_cndmask_b32_e64 v12, 0, -1, vcc_lo
	v_cmp_le_u32_e32 vcc_lo, s22, v1
	v_cndmask_b32_e64 v1, 0, -1, vcc_lo
	;; [unrolled: 2-line block ×3, first 2 shown]
	v_cmp_eq_u32_e32 vcc_lo, s23, v4
	v_cndmask_b32_e32 v4, v12, v11, vcc_lo
	v_add_co_u32 v11, vcc_lo, v3, 1
	v_cmp_eq_u32_e32 vcc_lo, s23, v2
	v_cndmask_b32_e32 v1, v13, v1, vcc_lo
	s_delay_alu instid0(VALU_DEP_4) | instskip(NEXT) | instid1(VALU_DEP_4)
	v_cmp_ne_u32_e32 vcc_lo, 0, v4
	v_cndmask_b32_e32 v2, v11, v10, vcc_lo
	s_delay_alu instid0(VALU_DEP_3) | instskip(NEXT) | instid1(VALU_DEP_2)
	v_cmp_ne_u32_e32 vcc_lo, 0, v1
	v_cndmask_b32_e32 v1, v3, v2, vcc_lo
	v_xor_b32_e32 v2, s20, v30
	s_delay_alu instid0(VALU_DEP_1) | instskip(NEXT) | instid1(VALU_DEP_1)
	v_xor_b32_e32 v1, v1, v2
	v_sub_co_u32 v11, vcc_lo, v1, v2
                                        ; implicit-def: $vgpr1
.LBB1_67:                               ;   in Loop: Header=BB1_9 Depth=2
	s_and_not1_saveexec_b32 s4, s35
; %bb.68:                               ;   in Loop: Header=BB1_9 Depth=2
	v_mul_hi_u32 v2, v1, v23
	s_delay_alu instid0(VALU_DEP_1) | instskip(NEXT) | instid1(VALU_DEP_1)
	v_mul_lo_u32 v3, v2, s6
	v_sub_nc_u32_e32 v1, v1, v3
	v_add_nc_u32_e32 v3, 1, v2
	s_delay_alu instid0(VALU_DEP_2) | instskip(SKIP_1) | instid1(VALU_DEP_2)
	v_subrev_nc_u32_e32 v4, s6, v1
	v_cmp_le_u32_e32 vcc_lo, s6, v1
	v_dual_cndmask_b32 v1, v1, v4 :: v_dual_cndmask_b32 v2, v2, v3
	s_delay_alu instid0(VALU_DEP_1) | instskip(NEXT) | instid1(VALU_DEP_2)
	v_cmp_le_u32_e32 vcc_lo, s6, v1
	v_add_nc_u32_e32 v3, 1, v2
	s_delay_alu instid0(VALU_DEP_1)
	v_cndmask_b32_e32 v11, v2, v3, vcc_lo
; %bb.69:                               ;   in Loop: Header=BB1_9 Depth=2
	s_or_b32 exec_lo, exec_lo, s4
.LBB1_70:                               ;   in Loop: Header=BB1_9 Depth=2
	s_delay_alu instid0(SALU_CYCLE_1)
	s_or_b32 exec_lo, exec_lo, s34
	s_and_saveexec_b32 s4, s33
	s_cbranch_execz .LBB1_72
; %bb.71:                               ;   in Loop: Header=BB1_9 Depth=2
	v_lshl_add_u32 v1, v11, 2, v22
	ds_add_u32 v1, v17
.LBB1_72:                               ;   in Loop: Header=BB1_9 Depth=2
	s_or_b32 exec_lo, exec_lo, s4
	s_delay_alu instid0(SALU_CYCLE_1)
	s_or_b32 exec_lo, exec_lo, s5
	s_and_saveexec_b32 s22, s3
	s_cbranch_execz .LBB1_50
.LBB1_73:                               ;   in Loop: Header=BB1_9 Depth=2
	s_waitcnt vmcnt(0)
	v_cmp_le_i64_e32 vcc_lo, s[16:17], v[5:6]
	v_cmp_gt_i64_e64 s3, s[18:19], v[5:6]
	s_delay_alu instid0(VALU_DEP_1) | instskip(NEXT) | instid1(SALU_CYCLE_1)
	s_and_b32 s23, vcc_lo, s3
	s_and_saveexec_b32 s33, s23
	s_cbranch_execz .LBB1_79
; %bb.74:                               ;   in Loop: Header=BB1_9 Depth=2
	v_sub_co_u32 v1, vcc_lo, v5, s16
	v_subrev_co_ci_u32_e32 v2, vcc_lo, s17, v6, vcc_lo
                                        ; implicit-def: $vgpr11_vgpr12
	s_mov_b32 s3, exec_lo
	s_delay_alu instid0(VALU_DEP_1) | instskip(NEXT) | instid1(VALU_DEP_1)
	v_or_b32_e32 v10, s7, v2
	v_cmpx_ne_u64_e32 0, v[9:10]
	s_xor_b32 s34, exec_lo, s3
	s_cbranch_execz .LBB1_76
; %bb.75:                               ;   in Loop: Header=BB1_9 Depth=2
	s_add_u32 s4, s6, s20
	s_mov_b32 s21, s20
	s_addc_u32 s5, s7, s20
	s_delay_alu instid0(SALU_CYCLE_1) | instskip(NEXT) | instid1(SALU_CYCLE_1)
	s_xor_b64 s[4:5], s[4:5], s[20:21]
	v_cvt_f32_u32_e32 v3, s4
	v_cvt_f32_u32_e32 v4, s5
	s_sub_u32 s3, 0, s4
	s_subb_u32 s21, 0, s5
	s_delay_alu instid0(VALU_DEP_1) | instskip(NEXT) | instid1(VALU_DEP_1)
	v_fmac_f32_e32 v3, 0x4f800000, v4
	v_rcp_f32_e32 v3, v3
	s_waitcnt_depctr 0xfff
	v_mul_f32_e32 v3, 0x5f7ffffc, v3
	s_delay_alu instid0(VALU_DEP_1) | instskip(NEXT) | instid1(VALU_DEP_1)
	v_mul_f32_e32 v4, 0x2f800000, v3
	v_trunc_f32_e32 v4, v4
	s_delay_alu instid0(VALU_DEP_1) | instskip(SKIP_1) | instid1(VALU_DEP_2)
	v_fmac_f32_e32 v3, 0xcf800000, v4
	v_cvt_u32_f32_e32 v4, v4
	v_cvt_u32_f32_e32 v3, v3
	s_delay_alu instid0(VALU_DEP_2) | instskip(NEXT) | instid1(VALU_DEP_2)
	v_mul_lo_u32 v5, s3, v4
	v_mul_hi_u32 v6, s3, v3
	v_mul_lo_u32 v10, s21, v3
	s_delay_alu instid0(VALU_DEP_2) | instskip(SKIP_1) | instid1(VALU_DEP_2)
	v_add_nc_u32_e32 v5, v6, v5
	v_mul_lo_u32 v6, s3, v3
	v_add_nc_u32_e32 v5, v5, v10
	s_delay_alu instid0(VALU_DEP_2) | instskip(NEXT) | instid1(VALU_DEP_2)
	v_mul_hi_u32 v10, v3, v6
	v_mul_lo_u32 v11, v3, v5
	v_mul_hi_u32 v12, v3, v5
	v_mul_hi_u32 v13, v4, v6
	v_mul_lo_u32 v6, v4, v6
	v_mul_hi_u32 v29, v4, v5
	v_mul_lo_u32 v5, v4, v5
	v_add_co_u32 v10, vcc_lo, v10, v11
	v_add_co_ci_u32_e32 v11, vcc_lo, 0, v12, vcc_lo
	s_delay_alu instid0(VALU_DEP_2) | instskip(NEXT) | instid1(VALU_DEP_2)
	v_add_co_u32 v6, vcc_lo, v10, v6
	v_add_co_ci_u32_e32 v6, vcc_lo, v11, v13, vcc_lo
	v_add_co_ci_u32_e32 v10, vcc_lo, 0, v29, vcc_lo
	v_ashrrev_i32_e32 v13, 31, v2
	s_delay_alu instid0(VALU_DEP_3) | instskip(NEXT) | instid1(VALU_DEP_3)
	v_add_co_u32 v5, vcc_lo, v6, v5
	v_add_co_ci_u32_e32 v6, vcc_lo, 0, v10, vcc_lo
	s_delay_alu instid0(VALU_DEP_2) | instskip(NEXT) | instid1(VALU_DEP_2)
	v_add_co_u32 v3, vcc_lo, v3, v5
	v_add_co_ci_u32_e32 v4, vcc_lo, v4, v6, vcc_lo
	s_delay_alu instid0(VALU_DEP_2) | instskip(SKIP_1) | instid1(VALU_DEP_3)
	v_mul_hi_u32 v5, s3, v3
	v_mul_lo_u32 v10, s21, v3
	v_mul_lo_u32 v6, s3, v4
	s_delay_alu instid0(VALU_DEP_1) | instskip(SKIP_1) | instid1(VALU_DEP_2)
	v_add_nc_u32_e32 v5, v5, v6
	v_mul_lo_u32 v6, s3, v3
	v_add_nc_u32_e32 v5, v5, v10
	s_delay_alu instid0(VALU_DEP_2) | instskip(NEXT) | instid1(VALU_DEP_2)
	v_mul_hi_u32 v10, v3, v6
	v_mul_lo_u32 v11, v3, v5
	v_mul_hi_u32 v12, v3, v5
	v_mul_hi_u32 v29, v4, v6
	v_mul_lo_u32 v6, v4, v6
	v_mul_hi_u32 v30, v4, v5
	v_mul_lo_u32 v5, v4, v5
	v_add_co_u32 v10, vcc_lo, v10, v11
	v_add_co_ci_u32_e32 v11, vcc_lo, 0, v12, vcc_lo
	s_delay_alu instid0(VALU_DEP_2) | instskip(NEXT) | instid1(VALU_DEP_2)
	v_add_co_u32 v6, vcc_lo, v10, v6
	v_add_co_ci_u32_e32 v6, vcc_lo, v11, v29, vcc_lo
	v_add_co_ci_u32_e32 v10, vcc_lo, 0, v30, vcc_lo
	v_add_co_u32 v1, vcc_lo, v1, v13
	v_add_co_ci_u32_e32 v2, vcc_lo, v2, v13, vcc_lo
	s_delay_alu instid0(VALU_DEP_4) | instskip(NEXT) | instid1(VALU_DEP_4)
	v_add_co_u32 v5, vcc_lo, v6, v5
	v_add_co_ci_u32_e32 v6, vcc_lo, 0, v10, vcc_lo
	s_delay_alu instid0(VALU_DEP_4) | instskip(NEXT) | instid1(VALU_DEP_3)
	v_xor_b32_e32 v10, v1, v13
	v_add_co_u32 v5, vcc_lo, v3, v5
	s_delay_alu instid0(VALU_DEP_3) | instskip(SKIP_1) | instid1(VALU_DEP_3)
	v_add_co_ci_u32_e32 v11, vcc_lo, v4, v6, vcc_lo
	v_xor_b32_e32 v12, v2, v13
	v_mul_hi_u32 v29, v10, v5
	s_delay_alu instid0(VALU_DEP_3) | instskip(NEXT) | instid1(VALU_DEP_3)
	v_mad_u64_u32 v[1:2], null, v10, v11, 0
	v_mad_u64_u32 v[3:4], null, v12, v5, 0
	;; [unrolled: 1-line block ×3, first 2 shown]
	s_delay_alu instid0(VALU_DEP_3) | instskip(NEXT) | instid1(VALU_DEP_4)
	v_add_co_u32 v1, vcc_lo, v29, v1
	v_add_co_ci_u32_e32 v2, vcc_lo, 0, v2, vcc_lo
	s_delay_alu instid0(VALU_DEP_2) | instskip(NEXT) | instid1(VALU_DEP_2)
	v_add_co_u32 v1, vcc_lo, v1, v3
	v_add_co_ci_u32_e32 v1, vcc_lo, v2, v4, vcc_lo
	v_add_co_ci_u32_e32 v2, vcc_lo, 0, v6, vcc_lo
	s_delay_alu instid0(VALU_DEP_2) | instskip(NEXT) | instid1(VALU_DEP_2)
	v_add_co_u32 v3, vcc_lo, v1, v5
	v_add_co_ci_u32_e32 v4, vcc_lo, 0, v2, vcc_lo
	s_delay_alu instid0(VALU_DEP_2) | instskip(SKIP_1) | instid1(VALU_DEP_3)
	v_mul_lo_u32 v5, s5, v3
	v_mad_u64_u32 v[1:2], null, s4, v3, 0
	v_mul_lo_u32 v4, s4, v4
	s_delay_alu instid0(VALU_DEP_2) | instskip(NEXT) | instid1(VALU_DEP_2)
	v_sub_co_u32 v1, vcc_lo, v10, v1
	v_add3_u32 v2, v2, v4, v5
	v_add_co_u32 v5, s3, v3, 2
	s_delay_alu instid0(VALU_DEP_2) | instskip(NEXT) | instid1(VALU_DEP_1)
	v_sub_nc_u32_e32 v4, v12, v2
	v_subrev_co_ci_u32_e64 v4, s3, s5, v4, vcc_lo
	v_sub_co_u32 v6, s3, v1, s4
	v_sub_co_ci_u32_e32 v2, vcc_lo, v12, v2, vcc_lo
	s_delay_alu instid0(VALU_DEP_3) | instskip(NEXT) | instid1(VALU_DEP_3)
	v_subrev_co_ci_u32_e64 v4, s3, 0, v4, s3
	v_cmp_le_u32_e32 vcc_lo, s4, v6
	v_cndmask_b32_e64 v6, 0, -1, vcc_lo
	s_delay_alu instid0(VALU_DEP_3)
	v_cmp_le_u32_e32 vcc_lo, s5, v4
	v_cndmask_b32_e64 v10, 0, -1, vcc_lo
	v_cmp_le_u32_e32 vcc_lo, s4, v1
	v_cndmask_b32_e64 v1, 0, -1, vcc_lo
	;; [unrolled: 2-line block ×3, first 2 shown]
	v_cmp_eq_u32_e32 vcc_lo, s5, v4
	v_cndmask_b32_e32 v4, v10, v6, vcc_lo
	v_add_co_u32 v6, vcc_lo, v3, 1
	v_cmp_eq_u32_e32 vcc_lo, s5, v2
	v_cndmask_b32_e32 v1, v11, v1, vcc_lo
	s_delay_alu instid0(VALU_DEP_4) | instskip(NEXT) | instid1(VALU_DEP_4)
	v_cmp_ne_u32_e32 vcc_lo, 0, v4
	v_cndmask_b32_e32 v2, v6, v5, vcc_lo
	s_delay_alu instid0(VALU_DEP_3) | instskip(NEXT) | instid1(VALU_DEP_2)
	v_cmp_ne_u32_e32 vcc_lo, 0, v1
	v_cndmask_b32_e32 v1, v3, v2, vcc_lo
	v_xor_b32_e32 v2, s20, v13
	s_delay_alu instid0(VALU_DEP_1) | instskip(NEXT) | instid1(VALU_DEP_1)
	v_xor_b32_e32 v1, v1, v2
	v_sub_co_u32 v11, vcc_lo, v1, v2
                                        ; implicit-def: $vgpr1
.LBB1_76:                               ;   in Loop: Header=BB1_9 Depth=2
	s_and_not1_saveexec_b32 s3, s34
; %bb.77:                               ;   in Loop: Header=BB1_9 Depth=2
	v_mul_hi_u32 v2, v1, v23
	s_delay_alu instid0(VALU_DEP_1) | instskip(NEXT) | instid1(VALU_DEP_1)
	v_mul_lo_u32 v3, v2, s6
	v_sub_nc_u32_e32 v1, v1, v3
	v_add_nc_u32_e32 v3, 1, v2
	s_delay_alu instid0(VALU_DEP_2) | instskip(SKIP_1) | instid1(VALU_DEP_2)
	v_subrev_nc_u32_e32 v4, s6, v1
	v_cmp_le_u32_e32 vcc_lo, s6, v1
	v_dual_cndmask_b32 v1, v1, v4 :: v_dual_cndmask_b32 v2, v2, v3
	s_delay_alu instid0(VALU_DEP_1) | instskip(NEXT) | instid1(VALU_DEP_2)
	v_cmp_le_u32_e32 vcc_lo, s6, v1
	v_add_nc_u32_e32 v3, 1, v2
	s_delay_alu instid0(VALU_DEP_1)
	v_cndmask_b32_e32 v11, v2, v3, vcc_lo
; %bb.78:                               ;   in Loop: Header=BB1_9 Depth=2
	s_or_b32 exec_lo, exec_lo, s3
.LBB1_79:                               ;   in Loop: Header=BB1_9 Depth=2
	s_delay_alu instid0(SALU_CYCLE_1)
	s_or_b32 exec_lo, exec_lo, s33
	s_and_saveexec_b32 s3, s23
	s_cbranch_execz .LBB1_81
; %bb.80:                               ;   in Loop: Header=BB1_9 Depth=2
	v_lshl_add_u32 v1, v11, 2, v22
	ds_add_u32 v1, v17
.LBB1_81:                               ;   in Loop: Header=BB1_9 Depth=2
	s_or_b32 exec_lo, exec_lo, s3
	s_delay_alu instid0(SALU_CYCLE_1)
	s_or_b32 exec_lo, exec_lo, s22
	s_and_saveexec_b32 s3, s2
	s_cbranch_execz .LBB1_89
.LBB1_82:                               ;   in Loop: Header=BB1_9 Depth=2
	s_waitcnt vmcnt(0)
	v_cmp_le_i64_e32 vcc_lo, s[16:17], v[7:8]
	v_cmp_gt_i64_e64 s2, s[18:19], v[7:8]
	s_delay_alu instid0(VALU_DEP_1) | instskip(NEXT) | instid1(SALU_CYCLE_1)
	s_and_b32 s22, vcc_lo, s2
	s_and_saveexec_b32 s23, s22
	s_cbranch_execz .LBB1_88
; %bb.83:                               ;   in Loop: Header=BB1_9 Depth=2
	v_sub_co_u32 v1, vcc_lo, v7, s16
	v_subrev_co_ci_u32_e32 v2, vcc_lo, s17, v8, vcc_lo
                                        ; implicit-def: $vgpr11_vgpr12
	s_mov_b32 s2, exec_lo
	s_delay_alu instid0(VALU_DEP_1) | instskip(NEXT) | instid1(VALU_DEP_1)
	v_or_b32_e32 v10, s7, v2
	v_cmpx_ne_u64_e32 0, v[9:10]
	s_xor_b32 s33, exec_lo, s2
	s_cbranch_execz .LBB1_85
; %bb.84:                               ;   in Loop: Header=BB1_9 Depth=2
	s_add_u32 s4, s6, s20
	s_mov_b32 s21, s20
	s_addc_u32 s5, s7, s20
	s_delay_alu instid0(SALU_CYCLE_1) | instskip(NEXT) | instid1(SALU_CYCLE_1)
	s_xor_b64 s[4:5], s[4:5], s[20:21]
	v_cvt_f32_u32_e32 v3, s4
	v_cvt_f32_u32_e32 v4, s5
	s_sub_u32 s2, 0, s4
	s_subb_u32 s21, 0, s5
	s_delay_alu instid0(VALU_DEP_1) | instskip(NEXT) | instid1(VALU_DEP_1)
	v_fmac_f32_e32 v3, 0x4f800000, v4
	v_rcp_f32_e32 v3, v3
	s_waitcnt_depctr 0xfff
	v_mul_f32_e32 v3, 0x5f7ffffc, v3
	s_delay_alu instid0(VALU_DEP_1) | instskip(NEXT) | instid1(VALU_DEP_1)
	v_mul_f32_e32 v4, 0x2f800000, v3
	v_trunc_f32_e32 v4, v4
	s_delay_alu instid0(VALU_DEP_1) | instskip(SKIP_1) | instid1(VALU_DEP_2)
	v_fmac_f32_e32 v3, 0xcf800000, v4
	v_cvt_u32_f32_e32 v4, v4
	v_cvt_u32_f32_e32 v3, v3
	s_delay_alu instid0(VALU_DEP_2) | instskip(NEXT) | instid1(VALU_DEP_2)
	v_mul_lo_u32 v5, s2, v4
	v_mul_hi_u32 v6, s2, v3
	v_mul_lo_u32 v7, s21, v3
	s_delay_alu instid0(VALU_DEP_2) | instskip(SKIP_1) | instid1(VALU_DEP_2)
	v_add_nc_u32_e32 v5, v6, v5
	v_mul_lo_u32 v6, s2, v3
	v_add_nc_u32_e32 v5, v5, v7
	s_delay_alu instid0(VALU_DEP_2) | instskip(NEXT) | instid1(VALU_DEP_2)
	v_mul_hi_u32 v7, v3, v6
	v_mul_lo_u32 v8, v3, v5
	v_mul_hi_u32 v10, v3, v5
	v_mul_hi_u32 v11, v4, v6
	v_mul_lo_u32 v6, v4, v6
	v_mul_hi_u32 v12, v4, v5
	v_mul_lo_u32 v5, v4, v5
	v_add_co_u32 v7, vcc_lo, v7, v8
	v_add_co_ci_u32_e32 v8, vcc_lo, 0, v10, vcc_lo
	s_delay_alu instid0(VALU_DEP_2) | instskip(NEXT) | instid1(VALU_DEP_2)
	v_add_co_u32 v6, vcc_lo, v7, v6
	v_add_co_ci_u32_e32 v6, vcc_lo, v8, v11, vcc_lo
	v_add_co_ci_u32_e32 v7, vcc_lo, 0, v12, vcc_lo
	v_ashrrev_i32_e32 v11, 31, v2
	s_delay_alu instid0(VALU_DEP_3) | instskip(NEXT) | instid1(VALU_DEP_3)
	v_add_co_u32 v5, vcc_lo, v6, v5
	v_add_co_ci_u32_e32 v6, vcc_lo, 0, v7, vcc_lo
	s_delay_alu instid0(VALU_DEP_2) | instskip(NEXT) | instid1(VALU_DEP_2)
	v_add_co_u32 v3, vcc_lo, v3, v5
	v_add_co_ci_u32_e32 v4, vcc_lo, v4, v6, vcc_lo
	s_delay_alu instid0(VALU_DEP_2) | instskip(SKIP_1) | instid1(VALU_DEP_3)
	v_mul_hi_u32 v5, s2, v3
	v_mul_lo_u32 v7, s21, v3
	v_mul_lo_u32 v6, s2, v4
	s_delay_alu instid0(VALU_DEP_1) | instskip(SKIP_1) | instid1(VALU_DEP_2)
	v_add_nc_u32_e32 v5, v5, v6
	v_mul_lo_u32 v6, s2, v3
	v_add_nc_u32_e32 v5, v5, v7
	s_delay_alu instid0(VALU_DEP_2) | instskip(NEXT) | instid1(VALU_DEP_2)
	v_mul_hi_u32 v7, v3, v6
	v_mul_lo_u32 v8, v3, v5
	v_mul_hi_u32 v10, v3, v5
	v_mul_hi_u32 v12, v4, v6
	v_mul_lo_u32 v6, v4, v6
	v_mul_hi_u32 v13, v4, v5
	v_mul_lo_u32 v5, v4, v5
	v_add_co_u32 v7, vcc_lo, v7, v8
	v_add_co_ci_u32_e32 v8, vcc_lo, 0, v10, vcc_lo
	s_delay_alu instid0(VALU_DEP_2) | instskip(NEXT) | instid1(VALU_DEP_2)
	v_add_co_u32 v6, vcc_lo, v7, v6
	v_add_co_ci_u32_e32 v6, vcc_lo, v8, v12, vcc_lo
	v_add_co_ci_u32_e32 v7, vcc_lo, 0, v13, vcc_lo
	v_add_co_u32 v1, vcc_lo, v1, v11
	v_add_co_ci_u32_e32 v2, vcc_lo, v2, v11, vcc_lo
	s_delay_alu instid0(VALU_DEP_4) | instskip(NEXT) | instid1(VALU_DEP_4)
	v_add_co_u32 v5, vcc_lo, v6, v5
	v_add_co_ci_u32_e32 v6, vcc_lo, 0, v7, vcc_lo
	s_delay_alu instid0(VALU_DEP_4) | instskip(NEXT) | instid1(VALU_DEP_3)
	v_xor_b32_e32 v7, v1, v11
	v_add_co_u32 v5, vcc_lo, v3, v5
	s_delay_alu instid0(VALU_DEP_3) | instskip(SKIP_1) | instid1(VALU_DEP_3)
	v_add_co_ci_u32_e32 v8, vcc_lo, v4, v6, vcc_lo
	v_xor_b32_e32 v10, v2, v11
	v_mul_hi_u32 v12, v7, v5
	s_delay_alu instid0(VALU_DEP_3) | instskip(NEXT) | instid1(VALU_DEP_3)
	v_mad_u64_u32 v[1:2], null, v7, v8, 0
	v_mad_u64_u32 v[3:4], null, v10, v5, 0
	;; [unrolled: 1-line block ×3, first 2 shown]
	s_delay_alu instid0(VALU_DEP_3) | instskip(NEXT) | instid1(VALU_DEP_4)
	v_add_co_u32 v1, vcc_lo, v12, v1
	v_add_co_ci_u32_e32 v2, vcc_lo, 0, v2, vcc_lo
	s_delay_alu instid0(VALU_DEP_2) | instskip(NEXT) | instid1(VALU_DEP_2)
	v_add_co_u32 v1, vcc_lo, v1, v3
	v_add_co_ci_u32_e32 v1, vcc_lo, v2, v4, vcc_lo
	v_add_co_ci_u32_e32 v2, vcc_lo, 0, v6, vcc_lo
	s_delay_alu instid0(VALU_DEP_2) | instskip(NEXT) | instid1(VALU_DEP_2)
	v_add_co_u32 v3, vcc_lo, v1, v5
	v_add_co_ci_u32_e32 v4, vcc_lo, 0, v2, vcc_lo
	s_delay_alu instid0(VALU_DEP_2) | instskip(SKIP_1) | instid1(VALU_DEP_3)
	v_mul_lo_u32 v5, s5, v3
	v_mad_u64_u32 v[1:2], null, s4, v3, 0
	v_mul_lo_u32 v4, s4, v4
	s_delay_alu instid0(VALU_DEP_2) | instskip(NEXT) | instid1(VALU_DEP_2)
	v_sub_co_u32 v1, vcc_lo, v7, v1
	v_add3_u32 v2, v2, v4, v5
	v_add_co_u32 v5, s2, v3, 2
	s_delay_alu instid0(VALU_DEP_2) | instskip(NEXT) | instid1(VALU_DEP_1)
	v_sub_nc_u32_e32 v4, v10, v2
	v_subrev_co_ci_u32_e64 v4, s2, s5, v4, vcc_lo
	v_sub_co_u32 v6, s2, v1, s4
	v_sub_co_ci_u32_e32 v2, vcc_lo, v10, v2, vcc_lo
	s_delay_alu instid0(VALU_DEP_3) | instskip(NEXT) | instid1(VALU_DEP_3)
	v_subrev_co_ci_u32_e64 v4, s2, 0, v4, s2
	v_cmp_le_u32_e32 vcc_lo, s4, v6
	v_cndmask_b32_e64 v6, 0, -1, vcc_lo
	s_delay_alu instid0(VALU_DEP_3)
	v_cmp_le_u32_e32 vcc_lo, s5, v4
	v_cndmask_b32_e64 v7, 0, -1, vcc_lo
	v_cmp_le_u32_e32 vcc_lo, s4, v1
	v_cndmask_b32_e64 v1, 0, -1, vcc_lo
	;; [unrolled: 2-line block ×3, first 2 shown]
	v_cmp_eq_u32_e32 vcc_lo, s5, v4
	v_cndmask_b32_e32 v4, v7, v6, vcc_lo
	v_add_co_u32 v6, vcc_lo, v3, 1
	v_cmp_eq_u32_e32 vcc_lo, s5, v2
	v_cndmask_b32_e32 v1, v8, v1, vcc_lo
	s_delay_alu instid0(VALU_DEP_4) | instskip(NEXT) | instid1(VALU_DEP_4)
	v_cmp_ne_u32_e32 vcc_lo, 0, v4
	v_cndmask_b32_e32 v2, v6, v5, vcc_lo
	s_delay_alu instid0(VALU_DEP_3) | instskip(NEXT) | instid1(VALU_DEP_2)
	v_cmp_ne_u32_e32 vcc_lo, 0, v1
	v_cndmask_b32_e32 v1, v3, v2, vcc_lo
	v_xor_b32_e32 v2, s20, v11
	s_delay_alu instid0(VALU_DEP_1) | instskip(NEXT) | instid1(VALU_DEP_1)
	v_xor_b32_e32 v1, v1, v2
	v_sub_co_u32 v11, vcc_lo, v1, v2
                                        ; implicit-def: $vgpr1
.LBB1_85:                               ;   in Loop: Header=BB1_9 Depth=2
	s_and_not1_saveexec_b32 s2, s33
; %bb.86:                               ;   in Loop: Header=BB1_9 Depth=2
	v_mul_hi_u32 v2, v1, v23
	s_delay_alu instid0(VALU_DEP_1) | instskip(NEXT) | instid1(VALU_DEP_1)
	v_mul_lo_u32 v3, v2, s6
	v_sub_nc_u32_e32 v1, v1, v3
	v_add_nc_u32_e32 v3, 1, v2
	s_delay_alu instid0(VALU_DEP_2) | instskip(SKIP_1) | instid1(VALU_DEP_2)
	v_subrev_nc_u32_e32 v4, s6, v1
	v_cmp_le_u32_e32 vcc_lo, s6, v1
	v_dual_cndmask_b32 v1, v1, v4 :: v_dual_cndmask_b32 v2, v2, v3
	s_delay_alu instid0(VALU_DEP_1) | instskip(NEXT) | instid1(VALU_DEP_2)
	v_cmp_le_u32_e32 vcc_lo, s6, v1
	v_add_nc_u32_e32 v3, 1, v2
	s_delay_alu instid0(VALU_DEP_1)
	v_cndmask_b32_e32 v11, v2, v3, vcc_lo
; %bb.87:                               ;   in Loop: Header=BB1_9 Depth=2
	s_or_b32 exec_lo, exec_lo, s2
.LBB1_88:                               ;   in Loop: Header=BB1_9 Depth=2
	s_delay_alu instid0(SALU_CYCLE_1) | instskip(NEXT) | instid1(SALU_CYCLE_1)
	s_or_b32 exec_lo, exec_lo, s23
	s_and_not1_b32 s2, s31, exec_lo
	s_and_b32 s4, s22, exec_lo
	s_delay_alu instid0(SALU_CYCLE_1)
	s_or_b32 s31, s2, s4
.LBB1_89:                               ;   in Loop: Header=BB1_9 Depth=2
	s_or_b32 exec_lo, exec_lo, s3
	s_waitcnt vmcnt(0)
	v_mov_b32_e32 v7, v24
	v_mov_b32_e32 v1, v11
	s_and_saveexec_b32 s2, s31
	s_cbranch_execz .LBB1_8
.LBB1_90:                               ;   in Loop: Header=BB1_9 Depth=2
	s_delay_alu instid0(VALU_DEP_1)
	v_lshl_add_u32 v1, v1, 2, v22
	v_mov_b32_e32 v24, v7
	ds_add_u32 v1, v17
	s_branch .LBB1_8
.LBB1_91:
	s_waitcnt lgkmcnt(0)
	s_barrier
	buffer_gl0_inv
	s_mov_b32 s2, exec_lo
	v_cmpx_gt_u32_e64 s24, v0
	s_cbranch_execz .LBB1_98
; %bb.92:
	s_load_b64 s[0:1], s[0:1], 0x20
	v_mov_b32_e32 v1, 0
	s_max_u32 s2, s25, 1
	s_mov_b32 s3, 0
	s_lshl_b32 s4, s24, 2
	s_set_inst_prefetch_distance 0x1
	s_branch .LBB1_94
	.p2align	6
.LBB1_93:                               ;   in Loop: Header=BB1_94 Depth=1
	s_or_b32 exec_lo, exec_lo, s5
	v_add_nc_u32_e32 v0, 0x100, v0
	v_add_nc_u32_e32 v14, 0x400, v14
	s_delay_alu instid0(VALU_DEP_2) | instskip(SKIP_1) | instid1(SALU_CYCLE_1)
	v_cmp_le_u32_e32 vcc_lo, s24, v0
	s_or_b32 s3, vcc_lo, s3
	s_and_not1_b32 exec_lo, exec_lo, s3
	s_cbranch_execz .LBB1_98
.LBB1_94:                               ; =>This Loop Header: Depth=1
                                        ;     Child Loop BB1_95 Depth 2
	v_dual_mov_b32 v3, v14 :: v_dual_mov_b32 v2, 0
	s_mov_b32 s5, s2
.LBB1_95:                               ;   Parent Loop BB1_94 Depth=1
                                        ; =>  This Inner Loop Header: Depth=2
	ds_load_b32 v4, v3
	v_add_nc_u32_e32 v3, s4, v3
	s_add_i32 s5, s5, -1
	s_delay_alu instid0(SALU_CYCLE_1)
	s_cmp_eq_u32 s5, 0
	s_waitcnt lgkmcnt(0)
	v_add_nc_u32_e32 v2, v4, v2
	s_cbranch_scc0 .LBB1_95
; %bb.96:                               ;   in Loop: Header=BB1_94 Depth=1
	s_mov_b32 s5, exec_lo
	s_delay_alu instid0(VALU_DEP_1)
	v_cmpx_ne_u32_e32 0, v2
	s_cbranch_execz .LBB1_93
; %bb.97:                               ;   in Loop: Header=BB1_94 Depth=1
	v_lshlrev_b64 v[3:4], 3, v[0:1]
	s_delay_alu instid0(VALU_DEP_1) | instskip(NEXT) | instid1(VALU_DEP_2)
	v_add_co_u32 v5, vcc_lo, s0, v3
	v_add_co_ci_u32_e32 v6, vcc_lo, s1, v4, vcc_lo
	v_mov_b32_e32 v3, v1
	global_atomic_add_u64 v[5:6], v[2:3], off
	s_branch .LBB1_93
.LBB1_98:
	s_set_inst_prefetch_distance 0x2
	s_nop 0
	s_sendmsg sendmsg(MSG_DEALLOC_VGPRS)
	s_endpgm
	.section	.rodata,"a",@progbits
	.p2align	6, 0x0
	.amdhsa_kernel _ZN7rocprim6detail23histogram_shared_kernelINS0_24wrapped_histogram_configINS_14default_configElLj1ELj1EEELj1ELj1EPlyNS0_18sample_to_bin_evenIlvEEEEvT2_jjjjjNS0_11fixed_arrayIPT3_XT1_EEENS9_IT4_XT1_EEENS9_IjXT1_EEE
		.amdhsa_group_segment_fixed_size 0
		.amdhsa_private_segment_fixed_size 0
		.amdhsa_kernarg_size 336
		.amdhsa_user_sgpr_count 14
		.amdhsa_user_sgpr_dispatch_ptr 0
		.amdhsa_user_sgpr_queue_ptr 0
		.amdhsa_user_sgpr_kernarg_segment_ptr 1
		.amdhsa_user_sgpr_dispatch_id 0
		.amdhsa_user_sgpr_private_segment_size 0
		.amdhsa_wavefront_size32 1
		.amdhsa_uses_dynamic_stack 0
		.amdhsa_enable_private_segment 0
		.amdhsa_system_sgpr_workgroup_id_x 1
		.amdhsa_system_sgpr_workgroup_id_y 1
		.amdhsa_system_sgpr_workgroup_id_z 0
		.amdhsa_system_sgpr_workgroup_info 0
		.amdhsa_system_vgpr_workitem_id 0
		.amdhsa_next_free_vgpr 36
		.amdhsa_next_free_sgpr 37
		.amdhsa_reserve_vcc 1
		.amdhsa_float_round_mode_32 0
		.amdhsa_float_round_mode_16_64 0
		.amdhsa_float_denorm_mode_32 3
		.amdhsa_float_denorm_mode_16_64 3
		.amdhsa_dx10_clamp 1
		.amdhsa_ieee_mode 1
		.amdhsa_fp16_overflow 0
		.amdhsa_workgroup_processor_mode 1
		.amdhsa_memory_ordered 1
		.amdhsa_forward_progress 0
		.amdhsa_shared_vgpr_count 0
		.amdhsa_exception_fp_ieee_invalid_op 0
		.amdhsa_exception_fp_denorm_src 0
		.amdhsa_exception_fp_ieee_div_zero 0
		.amdhsa_exception_fp_ieee_overflow 0
		.amdhsa_exception_fp_ieee_underflow 0
		.amdhsa_exception_fp_ieee_inexact 0
		.amdhsa_exception_int_div_zero 0
	.end_amdhsa_kernel
	.section	.text._ZN7rocprim6detail23histogram_shared_kernelINS0_24wrapped_histogram_configINS_14default_configElLj1ELj1EEELj1ELj1EPlyNS0_18sample_to_bin_evenIlvEEEEvT2_jjjjjNS0_11fixed_arrayIPT3_XT1_EEENS9_IT4_XT1_EEENS9_IjXT1_EEE,"axG",@progbits,_ZN7rocprim6detail23histogram_shared_kernelINS0_24wrapped_histogram_configINS_14default_configElLj1ELj1EEELj1ELj1EPlyNS0_18sample_to_bin_evenIlvEEEEvT2_jjjjjNS0_11fixed_arrayIPT3_XT1_EEENS9_IT4_XT1_EEENS9_IjXT1_EEE,comdat
.Lfunc_end1:
	.size	_ZN7rocprim6detail23histogram_shared_kernelINS0_24wrapped_histogram_configINS_14default_configElLj1ELj1EEELj1ELj1EPlyNS0_18sample_to_bin_evenIlvEEEEvT2_jjjjjNS0_11fixed_arrayIPT3_XT1_EEENS9_IT4_XT1_EEENS9_IjXT1_EEE, .Lfunc_end1-_ZN7rocprim6detail23histogram_shared_kernelINS0_24wrapped_histogram_configINS_14default_configElLj1ELj1EEELj1ELj1EPlyNS0_18sample_to_bin_evenIlvEEEEvT2_jjjjjNS0_11fixed_arrayIPT3_XT1_EEENS9_IT4_XT1_EEENS9_IjXT1_EEE
                                        ; -- End function
	.section	.AMDGPU.csdata,"",@progbits
; Kernel info:
; codeLenInByte = 8876
; NumSgprs: 39
; NumVgprs: 36
; ScratchSize: 0
; MemoryBound: 1
; FloatMode: 240
; IeeeMode: 1
; LDSByteSize: 0 bytes/workgroup (compile time only)
; SGPRBlocks: 4
; VGPRBlocks: 4
; NumSGPRsForWavesPerEU: 39
; NumVGPRsForWavesPerEU: 36
; Occupancy: 16
; WaveLimiterHint : 1
; COMPUTE_PGM_RSRC2:SCRATCH_EN: 0
; COMPUTE_PGM_RSRC2:USER_SGPR: 14
; COMPUTE_PGM_RSRC2:TRAP_HANDLER: 0
; COMPUTE_PGM_RSRC2:TGID_X_EN: 1
; COMPUTE_PGM_RSRC2:TGID_Y_EN: 1
; COMPUTE_PGM_RSRC2:TGID_Z_EN: 0
; COMPUTE_PGM_RSRC2:TIDIG_COMP_CNT: 0
	.section	.text._ZN7rocprim6detail23histogram_global_kernelINS0_24wrapped_histogram_configINS_14default_configElLj1ELj1EEELj1ELj1EPlyNS0_18sample_to_bin_evenIlvEEEEvT2_jjNS0_11fixed_arrayIPT3_XT1_EEENS9_IT4_XT1_EEENS9_IjXT1_EEE,"axG",@progbits,_ZN7rocprim6detail23histogram_global_kernelINS0_24wrapped_histogram_configINS_14default_configElLj1ELj1EEELj1ELj1EPlyNS0_18sample_to_bin_evenIlvEEEEvT2_jjNS0_11fixed_arrayIPT3_XT1_EEENS9_IT4_XT1_EEENS9_IjXT1_EEE,comdat
	.protected	_ZN7rocprim6detail23histogram_global_kernelINS0_24wrapped_histogram_configINS_14default_configElLj1ELj1EEELj1ELj1EPlyNS0_18sample_to_bin_evenIlvEEEEvT2_jjNS0_11fixed_arrayIPT3_XT1_EEENS9_IT4_XT1_EEENS9_IjXT1_EEE ; -- Begin function _ZN7rocprim6detail23histogram_global_kernelINS0_24wrapped_histogram_configINS_14default_configElLj1ELj1EEELj1ELj1EPlyNS0_18sample_to_bin_evenIlvEEEEvT2_jjNS0_11fixed_arrayIPT3_XT1_EEENS9_IT4_XT1_EEENS9_IjXT1_EEE
	.globl	_ZN7rocprim6detail23histogram_global_kernelINS0_24wrapped_histogram_configINS_14default_configElLj1ELj1EEELj1ELj1EPlyNS0_18sample_to_bin_evenIlvEEEEvT2_jjNS0_11fixed_arrayIPT3_XT1_EEENS9_IT4_XT1_EEENS9_IjXT1_EEE
	.p2align	8
	.type	_ZN7rocprim6detail23histogram_global_kernelINS0_24wrapped_histogram_configINS_14default_configElLj1ELj1EEELj1ELj1EPlyNS0_18sample_to_bin_evenIlvEEEEvT2_jjNS0_11fixed_arrayIPT3_XT1_EEENS9_IT4_XT1_EEENS9_IjXT1_EEE,@function
_ZN7rocprim6detail23histogram_global_kernelINS0_24wrapped_histogram_configINS_14default_configElLj1ELj1EEELj1ELj1EPlyNS0_18sample_to_bin_evenIlvEEEEvT2_jjNS0_11fixed_arrayIPT3_XT1_EEENS9_IT4_XT1_EEENS9_IjXT1_EEE: ; @_ZN7rocprim6detail23histogram_global_kernelINS0_24wrapped_histogram_configINS_14default_configElLj1ELj1EEELj1ELj1EPlyNS0_18sample_to_bin_evenIlvEEEEvT2_jjNS0_11fixed_arrayIPT3_XT1_EEENS9_IT4_XT1_EEENS9_IjXT1_EEE
; %bb.0:
	s_clause 0x2
	s_load_b128 s[8:11], s[0:1], 0x0
	s_load_b128 s[4:7], s[0:1], 0x20
	s_load_b64 s[12:13], s[0:1], 0x30
	s_lshl_b32 s16, s14, 10
	v_lshlrev_b32_e32 v11, 2, v0
	s_waitcnt lgkmcnt(0)
	s_mul_i32 s2, s15, s11
	s_mov_b32 s15, 0
	s_add_i32 s14, s2, s16
	s_delay_alu instid0(SALU_CYCLE_1) | instskip(SKIP_4) | instid1(SALU_CYCLE_1)
	s_lshl_b64 s[2:3], s[14:15], 3
	s_movk_i32 s14, 0x400
	s_add_u32 s2, s8, s2
	s_addc_u32 s3, s9, s3
	s_add_i32 s8, s16, 0x400
	s_cmp_gt_u32 s8, s10
	s_cbranch_scc1 .LBB2_2
; %bb.1:
	v_lshlrev_b32_e32 v3, 3, v0
	v_lshlrev_b32_e32 v9, 2, v0
	s_delay_alu instid0(VALU_DEP_2) | instskip(NEXT) | instid1(VALU_DEP_1)
	v_add_co_u32 v1, s8, s2, v3
	v_add_co_ci_u32_e64 v2, null, s3, 0, s8
	s_delay_alu instid0(VALU_DEP_2) | instskip(NEXT) | instid1(VALU_DEP_2)
	v_add_co_u32 v7, vcc_lo, 0x1000, v1
	v_add_co_ci_u32_e32 v8, vcc_lo, 0, v2, vcc_lo
	s_clause 0x3
	global_load_b64 v[1:2], v3, s[2:3]
	global_load_b64 v[3:4], v3, s[2:3] offset:2048
	global_load_b64 v[5:6], v[7:8], off
	global_load_b64 v[7:8], v[7:8], off offset:2048
	s_and_not1_b32 vcc_lo, exec_lo, s15
	s_cbranch_vccz .LBB2_3
	s_branch .LBB2_12
.LBB2_2:
                                        ; implicit-def: $sgpr14
                                        ; implicit-def: $vgpr1_vgpr2
                                        ; implicit-def: $vgpr9
.LBB2_3:
	v_lshlrev_b32_e32 v0, 5, v0
	s_sub_i32 s14, s10, s16
                                        ; implicit-def: $vgpr1_vgpr2_vgpr3_vgpr4_vgpr5_vgpr6_vgpr7_vgpr8
	s_delay_alu instid0(VALU_DEP_1) | instskip(NEXT) | instid1(VALU_DEP_1)
	v_add_co_u32 v9, s2, s2, v0
	v_add_co_ci_u32_e64 v10, null, s3, 0, s2
	s_mov_b32 s2, exec_lo
	v_cmpx_gt_u32_e64 s14, v11
	s_cbranch_execz .LBB2_5
; %bb.4:
	global_load_b64 v[1:2], v[9:10], off
.LBB2_5:
	s_or_b32 exec_lo, exec_lo, s2
	v_or_b32_e32 v0, 1, v11
	s_mov_b32 s2, exec_lo
	s_delay_alu instid0(VALU_DEP_1)
	v_cmpx_gt_u32_e64 s14, v0
	s_cbranch_execz .LBB2_7
; %bb.6:
	global_load_b64 v[3:4], v[9:10], off offset:8
.LBB2_7:
	s_or_b32 exec_lo, exec_lo, s2
	v_or_b32_e32 v0, 2, v11
	s_mov_b32 s2, exec_lo
	s_delay_alu instid0(VALU_DEP_1)
	v_cmpx_gt_u32_e64 s14, v0
	s_cbranch_execz .LBB2_9
; %bb.8:
	global_load_b64 v[5:6], v[9:10], off offset:16
.LBB2_9:
	;; [unrolled: 9-line block ×3, first 2 shown]
	s_or_b32 exec_lo, exec_lo, s2
	v_mov_b32_e32 v9, v11
.LBB2_12:
	s_waitcnt vmcnt(0)
	v_cmp_le_i64_e32 vcc_lo, s[4:5], v[1:2]
	v_cmp_gt_i64_e64 s2, s[6:7], v[1:2]
                                        ; implicit-def: $vgpr0
	s_delay_alu instid0(VALU_DEP_1) | instskip(NEXT) | instid1(SALU_CYCLE_1)
	s_and_b32 s16, vcc_lo, s2
	s_and_saveexec_b32 s3, s16
	s_cbranch_execz .LBB2_18
; %bb.13:
	v_sub_co_u32 v10, vcc_lo, v1, s4
	v_subrev_co_ci_u32_e32 v2, vcc_lo, s5, v2, vcc_lo
	v_mov_b32_e32 v0, 0
	s_delay_alu instid0(VALU_DEP_2) | instskip(NEXT) | instid1(VALU_DEP_1)
	v_or_b32_e32 v1, s13, v2
	v_cmp_ne_u64_e32 vcc_lo, 0, v[0:1]
                                        ; implicit-def: $vgpr0_vgpr1
	s_and_saveexec_b32 s2, vcc_lo
	s_delay_alu instid0(SALU_CYCLE_1)
	s_xor_b32 s15, exec_lo, s2
	s_cbranch_execz .LBB2_15
; %bb.14:
	s_ashr_i32 s8, s13, 31
	s_delay_alu instid0(SALU_CYCLE_1) | instskip(SKIP_2) | instid1(SALU_CYCLE_1)
	s_add_u32 s10, s12, s8
	s_mov_b32 s9, s8
	s_addc_u32 s11, s13, s8
	s_xor_b64 s[10:11], s[10:11], s[8:9]
	s_delay_alu instid0(SALU_CYCLE_1) | instskip(SKIP_3) | instid1(VALU_DEP_1)
	v_cvt_f32_u32_e32 v0, s10
	v_cvt_f32_u32_e32 v1, s11
	s_sub_u32 s2, 0, s10
	s_subb_u32 s9, 0, s11
	v_fmamk_f32 v0, v1, 0x4f800000, v0
	s_delay_alu instid0(VALU_DEP_1) | instskip(SKIP_2) | instid1(VALU_DEP_1)
	v_rcp_f32_e32 v0, v0
	s_waitcnt_depctr 0xfff
	v_mul_f32_e32 v0, 0x5f7ffffc, v0
	v_mul_f32_e32 v1, 0x2f800000, v0
	s_delay_alu instid0(VALU_DEP_1) | instskip(NEXT) | instid1(VALU_DEP_1)
	v_trunc_f32_e32 v1, v1
	v_fmamk_f32 v0, v1, 0xcf800000, v0
	v_cvt_u32_f32_e32 v1, v1
	s_delay_alu instid0(VALU_DEP_2) | instskip(NEXT) | instid1(VALU_DEP_2)
	v_cvt_u32_f32_e32 v0, v0
	v_mul_lo_u32 v11, s2, v1
	s_delay_alu instid0(VALU_DEP_2) | instskip(SKIP_1) | instid1(VALU_DEP_2)
	v_mul_hi_u32 v12, s2, v0
	v_mul_lo_u32 v13, s9, v0
	v_add_nc_u32_e32 v11, v12, v11
	v_mul_lo_u32 v12, s2, v0
	s_delay_alu instid0(VALU_DEP_2) | instskip(NEXT) | instid1(VALU_DEP_2)
	v_add_nc_u32_e32 v11, v11, v13
	v_mul_hi_u32 v13, v0, v12
	s_delay_alu instid0(VALU_DEP_2)
	v_mul_lo_u32 v14, v0, v11
	v_mul_hi_u32 v15, v0, v11
	v_mul_hi_u32 v16, v1, v12
	v_mul_lo_u32 v12, v1, v12
	v_mul_hi_u32 v17, v1, v11
	v_mul_lo_u32 v11, v1, v11
	v_add_co_u32 v13, vcc_lo, v13, v14
	v_add_co_ci_u32_e32 v14, vcc_lo, 0, v15, vcc_lo
	s_delay_alu instid0(VALU_DEP_2) | instskip(NEXT) | instid1(VALU_DEP_2)
	v_add_co_u32 v12, vcc_lo, v13, v12
	v_add_co_ci_u32_e32 v12, vcc_lo, v14, v16, vcc_lo
	v_add_co_ci_u32_e32 v13, vcc_lo, 0, v17, vcc_lo
	v_ashrrev_i32_e32 v16, 31, v2
	s_delay_alu instid0(VALU_DEP_3) | instskip(NEXT) | instid1(VALU_DEP_3)
	v_add_co_u32 v11, vcc_lo, v12, v11
	v_add_co_ci_u32_e32 v12, vcc_lo, 0, v13, vcc_lo
	s_delay_alu instid0(VALU_DEP_2) | instskip(NEXT) | instid1(VALU_DEP_2)
	v_add_co_u32 v0, vcc_lo, v0, v11
	v_add_co_ci_u32_e32 v1, vcc_lo, v1, v12, vcc_lo
	s_delay_alu instid0(VALU_DEP_2) | instskip(SKIP_1) | instid1(VALU_DEP_3)
	v_mul_hi_u32 v11, s2, v0
	v_mul_lo_u32 v13, s9, v0
	v_mul_lo_u32 v12, s2, v1
	s_delay_alu instid0(VALU_DEP_1) | instskip(SKIP_1) | instid1(VALU_DEP_2)
	v_add_nc_u32_e32 v11, v11, v12
	v_mul_lo_u32 v12, s2, v0
	v_add_nc_u32_e32 v11, v11, v13
	s_delay_alu instid0(VALU_DEP_2) | instskip(NEXT) | instid1(VALU_DEP_2)
	v_mul_hi_u32 v13, v0, v12
	v_mul_lo_u32 v14, v0, v11
	v_mul_hi_u32 v15, v0, v11
	v_mul_hi_u32 v17, v1, v12
	v_mul_lo_u32 v12, v1, v12
	v_mul_hi_u32 v18, v1, v11
	v_mul_lo_u32 v11, v1, v11
	v_add_co_u32 v13, vcc_lo, v13, v14
	v_add_co_ci_u32_e32 v14, vcc_lo, 0, v15, vcc_lo
	s_delay_alu instid0(VALU_DEP_2) | instskip(NEXT) | instid1(VALU_DEP_2)
	v_add_co_u32 v12, vcc_lo, v13, v12
	v_add_co_ci_u32_e32 v12, vcc_lo, v14, v17, vcc_lo
	v_add_co_ci_u32_e32 v13, vcc_lo, 0, v18, vcc_lo
	v_add_co_u32 v10, vcc_lo, v10, v16
	v_add_co_ci_u32_e32 v2, vcc_lo, v2, v16, vcc_lo
	s_delay_alu instid0(VALU_DEP_4) | instskip(NEXT) | instid1(VALU_DEP_4)
	v_add_co_u32 v11, vcc_lo, v12, v11
	v_add_co_ci_u32_e32 v12, vcc_lo, 0, v13, vcc_lo
	s_delay_alu instid0(VALU_DEP_4) | instskip(NEXT) | instid1(VALU_DEP_3)
	v_xor_b32_e32 v14, v10, v16
	v_add_co_u32 v13, vcc_lo, v0, v11
	s_delay_alu instid0(VALU_DEP_3) | instskip(SKIP_1) | instid1(VALU_DEP_3)
	v_add_co_ci_u32_e32 v15, vcc_lo, v1, v12, vcc_lo
	v_xor_b32_e32 v2, v2, v16
	v_mul_hi_u32 v17, v14, v13
	s_delay_alu instid0(VALU_DEP_3) | instskip(NEXT) | instid1(VALU_DEP_3)
	v_mad_u64_u32 v[0:1], null, v14, v15, 0
	v_mad_u64_u32 v[10:11], null, v2, v13, 0
	;; [unrolled: 1-line block ×3, first 2 shown]
	s_delay_alu instid0(VALU_DEP_3) | instskip(NEXT) | instid1(VALU_DEP_4)
	v_add_co_u32 v0, vcc_lo, v17, v0
	v_add_co_ci_u32_e32 v1, vcc_lo, 0, v1, vcc_lo
	s_delay_alu instid0(VALU_DEP_2) | instskip(NEXT) | instid1(VALU_DEP_2)
	v_add_co_u32 v0, vcc_lo, v0, v10
	v_add_co_ci_u32_e32 v0, vcc_lo, v1, v11, vcc_lo
	v_add_co_ci_u32_e32 v1, vcc_lo, 0, v13, vcc_lo
	s_delay_alu instid0(VALU_DEP_2) | instskip(NEXT) | instid1(VALU_DEP_2)
	v_add_co_u32 v10, vcc_lo, v0, v12
	v_add_co_ci_u32_e32 v11, vcc_lo, 0, v1, vcc_lo
	s_delay_alu instid0(VALU_DEP_2) | instskip(SKIP_1) | instid1(VALU_DEP_3)
	v_mul_lo_u32 v12, s11, v10
	v_mad_u64_u32 v[0:1], null, s10, v10, 0
	v_mul_lo_u32 v11, s10, v11
	s_delay_alu instid0(VALU_DEP_2) | instskip(NEXT) | instid1(VALU_DEP_2)
	v_sub_co_u32 v0, vcc_lo, v14, v0
	v_add3_u32 v1, v1, v11, v12
	v_add_co_u32 v12, s2, v10, 2
	s_delay_alu instid0(VALU_DEP_2) | instskip(NEXT) | instid1(VALU_DEP_1)
	v_sub_nc_u32_e32 v11, v2, v1
	v_subrev_co_ci_u32_e64 v11, s2, s11, v11, vcc_lo
	v_sub_co_u32 v13, s2, v0, s10
	v_sub_co_ci_u32_e32 v1, vcc_lo, v2, v1, vcc_lo
	s_delay_alu instid0(VALU_DEP_3) | instskip(NEXT) | instid1(VALU_DEP_3)
	v_subrev_co_ci_u32_e64 v11, s2, 0, v11, s2
	v_cmp_le_u32_e32 vcc_lo, s10, v13
	v_cndmask_b32_e64 v2, 0, -1, vcc_lo
	s_delay_alu instid0(VALU_DEP_3)
	v_cmp_le_u32_e32 vcc_lo, s11, v11
	v_cndmask_b32_e64 v13, 0, -1, vcc_lo
	v_cmp_le_u32_e32 vcc_lo, s10, v0
	v_cndmask_b32_e64 v0, 0, -1, vcc_lo
	;; [unrolled: 2-line block ×3, first 2 shown]
	v_cmp_eq_u32_e32 vcc_lo, s11, v11
	v_cndmask_b32_e32 v2, v13, v2, vcc_lo
	v_add_co_u32 v11, vcc_lo, v10, 1
	v_cmp_eq_u32_e32 vcc_lo, s11, v1
	v_cndmask_b32_e32 v0, v14, v0, vcc_lo
	s_delay_alu instid0(VALU_DEP_4) | instskip(NEXT) | instid1(VALU_DEP_4)
	v_cmp_ne_u32_e32 vcc_lo, 0, v2
	v_cndmask_b32_e32 v1, v11, v12, vcc_lo
	s_delay_alu instid0(VALU_DEP_3) | instskip(NEXT) | instid1(VALU_DEP_2)
	v_cmp_ne_u32_e32 vcc_lo, 0, v0
	v_cndmask_b32_e32 v0, v10, v1, vcc_lo
	v_xor_b32_e32 v1, s8, v16
                                        ; implicit-def: $vgpr10
	s_delay_alu instid0(VALU_DEP_1) | instskip(NEXT) | instid1(VALU_DEP_1)
	v_xor_b32_e32 v0, v0, v1
	v_sub_co_u32 v0, vcc_lo, v0, v1
.LBB2_15:
	s_and_not1_saveexec_b32 s2, s15
	s_cbranch_execz .LBB2_17
; %bb.16:
	v_cvt_f32_u32_e32 v0, s12
	s_sub_i32 s8, 0, s12
	s_delay_alu instid0(VALU_DEP_1) | instskip(SKIP_2) | instid1(VALU_DEP_1)
	v_rcp_iflag_f32_e32 v0, v0
	s_waitcnt_depctr 0xfff
	v_mul_f32_e32 v0, 0x4f7ffffe, v0
	v_cvt_u32_f32_e32 v0, v0
	s_delay_alu instid0(VALU_DEP_1) | instskip(NEXT) | instid1(VALU_DEP_1)
	v_mul_lo_u32 v1, s8, v0
	v_mul_hi_u32 v1, v0, v1
	s_delay_alu instid0(VALU_DEP_1) | instskip(NEXT) | instid1(VALU_DEP_1)
	v_add_nc_u32_e32 v0, v0, v1
	v_mul_hi_u32 v0, v10, v0
	s_delay_alu instid0(VALU_DEP_1) | instskip(SKIP_1) | instid1(VALU_DEP_2)
	v_mul_lo_u32 v1, v0, s12
	v_add_nc_u32_e32 v2, 1, v0
	v_sub_nc_u32_e32 v1, v10, v1
	s_delay_alu instid0(VALU_DEP_1) | instskip(SKIP_1) | instid1(VALU_DEP_2)
	v_subrev_nc_u32_e32 v10, s12, v1
	v_cmp_le_u32_e32 vcc_lo, s12, v1
	v_cndmask_b32_e32 v1, v1, v10, vcc_lo
	v_cndmask_b32_e32 v0, v0, v2, vcc_lo
	s_delay_alu instid0(VALU_DEP_2) | instskip(NEXT) | instid1(VALU_DEP_2)
	v_cmp_le_u32_e32 vcc_lo, s12, v1
	v_add_nc_u32_e32 v2, 1, v0
	s_delay_alu instid0(VALU_DEP_1)
	v_cndmask_b32_e32 v0, v0, v2, vcc_lo
.LBB2_17:
	s_or_b32 exec_lo, exec_lo, s2
.LBB2_18:
	s_delay_alu instid0(SALU_CYCLE_1)
	s_or_b32 exec_lo, exec_lo, s3
	s_clause 0x1
	s_load_b32 s15, s[0:1], 0x38
	s_load_b64 s[2:3], s[0:1], 0x10
	s_waitcnt lgkmcnt(0)
	s_cmp_lg_u32 s15, 0
	s_cselect_b32 s8, -1, 0
	s_delay_alu instid0(SALU_CYCLE_1)
	v_cndmask_b32_e64 v2, 0, 1, s8
	s_and_saveexec_b32 s1, s16
	s_cbranch_execz .LBB2_24
; %bb.19:
	v_cmp_gt_u32_e64 s0, s14, v9
	s_and_not1_b32 vcc_lo, exec_lo, s8
	s_delay_alu instid0(VALU_DEP_1)
	v_mov_b32_e32 v1, s0
	s_cbranch_vccnz .LBB2_22
; %bb.20:
	v_mov_b32_e32 v1, s0
	s_mov_b32 s8, 0
	s_sub_i32 s9, 0, s15
.LBB2_21:                               ; =>This Inner Loop Header: Depth=1
	s_add_i32 s10, s8, 31
	s_add_i32 s8, s8, -1
	v_lshlrev_b32_e32 v10, s10, v0
	s_cmp_lg_u32 s9, s8
	s_delay_alu instid0(VALU_DEP_1) | instskip(SKIP_1) | instid1(VALU_DEP_2)
	v_not_b32_e32 v11, v10
	v_cmp_gt_i32_e32 vcc_lo, 0, v10
	v_ashrrev_i32_e32 v10, 31, v11
	s_delay_alu instid0(VALU_DEP_1) | instskip(NEXT) | instid1(VALU_DEP_1)
	v_xor_b32_e32 v10, vcc_lo, v10
	v_and_b32_e32 v1, v10, v1
	s_cbranch_scc1 .LBB2_21
.LBB2_22:
	s_delay_alu instid0(VALU_DEP_1) | instskip(NEXT) | instid1(VALU_DEP_1)
	v_cndmask_b32_e64 v10, 0, v1, s0
	v_mbcnt_lo_u32_b32 v1, v10, 0
	v_cmp_ne_u32_e64 s0, 0, v10
	s_delay_alu instid0(VALU_DEP_2) | instskip(NEXT) | instid1(VALU_DEP_2)
	v_cmp_eq_u32_e32 vcc_lo, 0, v1
	s_and_b32 s0, s0, vcc_lo
	s_delay_alu instid0(SALU_CYCLE_1)
	s_and_b32 exec_lo, exec_lo, s0
	s_cbranch_execz .LBB2_24
; %bb.23:
	v_mov_b32_e32 v1, 0
	v_bcnt_u32_b32 v10, v10, 0
	s_delay_alu instid0(VALU_DEP_2) | instskip(NEXT) | instid1(VALU_DEP_1)
	v_lshlrev_b64 v[11:12], 3, v[0:1]
	v_add_co_u32 v13, vcc_lo, s2, v11
	s_delay_alu instid0(VALU_DEP_2)
	v_add_co_ci_u32_e32 v14, vcc_lo, s3, v12, vcc_lo
	v_mov_b32_e32 v11, v1
	global_atomic_add_u64 v[13:14], v[10:11], off
.LBB2_24:
	s_or_b32 exec_lo, exec_lo, s1
	v_cmp_le_i64_e32 vcc_lo, s[4:5], v[3:4]
	v_cmp_gt_i64_e64 s0, s[6:7], v[3:4]
	s_delay_alu instid0(VALU_DEP_1) | instskip(NEXT) | instid1(SALU_CYCLE_1)
	s_and_b32 s1, vcc_lo, s0
	s_and_saveexec_b32 s16, s1
	s_cbranch_execz .LBB2_30
; %bb.25:
	v_sub_co_u32 v3, vcc_lo, v3, s4
	v_subrev_co_ci_u32_e32 v4, vcc_lo, s5, v4, vcc_lo
	v_mov_b32_e32 v0, 0
	s_delay_alu instid0(VALU_DEP_2) | instskip(NEXT) | instid1(VALU_DEP_1)
	v_or_b32_e32 v1, s13, v4
	v_cmp_ne_u64_e32 vcc_lo, 0, v[0:1]
                                        ; implicit-def: $vgpr0_vgpr1
	s_and_saveexec_b32 s0, vcc_lo
	s_delay_alu instid0(SALU_CYCLE_1)
	s_xor_b32 s17, exec_lo, s0
	s_cbranch_execz .LBB2_27
; %bb.26:
	s_ashr_i32 s8, s13, 31
	s_delay_alu instid0(SALU_CYCLE_1) | instskip(SKIP_2) | instid1(SALU_CYCLE_1)
	s_add_u32 s10, s12, s8
	s_mov_b32 s9, s8
	s_addc_u32 s11, s13, s8
	s_xor_b64 s[10:11], s[10:11], s[8:9]
	s_delay_alu instid0(SALU_CYCLE_1) | instskip(SKIP_3) | instid1(VALU_DEP_1)
	v_cvt_f32_u32_e32 v0, s10
	v_cvt_f32_u32_e32 v1, s11
	s_sub_u32 s0, 0, s10
	s_subb_u32 s9, 0, s11
	v_fmamk_f32 v0, v1, 0x4f800000, v0
	s_delay_alu instid0(VALU_DEP_1) | instskip(SKIP_2) | instid1(VALU_DEP_1)
	v_rcp_f32_e32 v0, v0
	s_waitcnt_depctr 0xfff
	v_mul_f32_e32 v0, 0x5f7ffffc, v0
	v_mul_f32_e32 v1, 0x2f800000, v0
	s_delay_alu instid0(VALU_DEP_1) | instskip(NEXT) | instid1(VALU_DEP_1)
	v_trunc_f32_e32 v1, v1
	v_fmamk_f32 v0, v1, 0xcf800000, v0
	v_cvt_u32_f32_e32 v1, v1
	s_delay_alu instid0(VALU_DEP_2) | instskip(NEXT) | instid1(VALU_DEP_2)
	v_cvt_u32_f32_e32 v0, v0
	v_mul_lo_u32 v10, s0, v1
	s_delay_alu instid0(VALU_DEP_2) | instskip(SKIP_1) | instid1(VALU_DEP_2)
	v_mul_hi_u32 v11, s0, v0
	v_mul_lo_u32 v12, s9, v0
	v_add_nc_u32_e32 v10, v11, v10
	v_mul_lo_u32 v11, s0, v0
	s_delay_alu instid0(VALU_DEP_2) | instskip(NEXT) | instid1(VALU_DEP_2)
	v_add_nc_u32_e32 v10, v10, v12
	v_mul_hi_u32 v12, v0, v11
	s_delay_alu instid0(VALU_DEP_2)
	v_mul_lo_u32 v13, v0, v10
	v_mul_hi_u32 v14, v0, v10
	v_mul_hi_u32 v15, v1, v11
	v_mul_lo_u32 v11, v1, v11
	v_mul_hi_u32 v16, v1, v10
	v_mul_lo_u32 v10, v1, v10
	v_add_co_u32 v12, vcc_lo, v12, v13
	v_add_co_ci_u32_e32 v13, vcc_lo, 0, v14, vcc_lo
	s_delay_alu instid0(VALU_DEP_2) | instskip(NEXT) | instid1(VALU_DEP_2)
	v_add_co_u32 v11, vcc_lo, v12, v11
	v_add_co_ci_u32_e32 v11, vcc_lo, v13, v15, vcc_lo
	v_add_co_ci_u32_e32 v12, vcc_lo, 0, v16, vcc_lo
	v_ashrrev_i32_e32 v15, 31, v4
	s_delay_alu instid0(VALU_DEP_3) | instskip(NEXT) | instid1(VALU_DEP_3)
	v_add_co_u32 v10, vcc_lo, v11, v10
	v_add_co_ci_u32_e32 v11, vcc_lo, 0, v12, vcc_lo
	s_delay_alu instid0(VALU_DEP_2) | instskip(NEXT) | instid1(VALU_DEP_2)
	v_add_co_u32 v0, vcc_lo, v0, v10
	v_add_co_ci_u32_e32 v1, vcc_lo, v1, v11, vcc_lo
	s_delay_alu instid0(VALU_DEP_2) | instskip(SKIP_1) | instid1(VALU_DEP_3)
	v_mul_hi_u32 v10, s0, v0
	v_mul_lo_u32 v12, s9, v0
	v_mul_lo_u32 v11, s0, v1
	s_delay_alu instid0(VALU_DEP_1) | instskip(SKIP_1) | instid1(VALU_DEP_2)
	v_add_nc_u32_e32 v10, v10, v11
	v_mul_lo_u32 v11, s0, v0
	v_add_nc_u32_e32 v10, v10, v12
	s_delay_alu instid0(VALU_DEP_2) | instskip(NEXT) | instid1(VALU_DEP_2)
	v_mul_hi_u32 v12, v0, v11
	v_mul_lo_u32 v13, v0, v10
	v_mul_hi_u32 v14, v0, v10
	v_mul_hi_u32 v16, v1, v11
	v_mul_lo_u32 v11, v1, v11
	v_mul_hi_u32 v17, v1, v10
	v_mul_lo_u32 v10, v1, v10
	v_add_co_u32 v12, vcc_lo, v12, v13
	v_add_co_ci_u32_e32 v13, vcc_lo, 0, v14, vcc_lo
	s_delay_alu instid0(VALU_DEP_2) | instskip(NEXT) | instid1(VALU_DEP_2)
	v_add_co_u32 v11, vcc_lo, v12, v11
	v_add_co_ci_u32_e32 v11, vcc_lo, v13, v16, vcc_lo
	v_add_co_ci_u32_e32 v12, vcc_lo, 0, v17, vcc_lo
	v_add_co_u32 v3, vcc_lo, v3, v15
	v_add_co_ci_u32_e32 v4, vcc_lo, v4, v15, vcc_lo
	s_delay_alu instid0(VALU_DEP_4) | instskip(NEXT) | instid1(VALU_DEP_4)
	v_add_co_u32 v10, vcc_lo, v11, v10
	v_add_co_ci_u32_e32 v11, vcc_lo, 0, v12, vcc_lo
	s_delay_alu instid0(VALU_DEP_4) | instskip(NEXT) | instid1(VALU_DEP_3)
	v_xor_b32_e32 v12, v3, v15
	v_add_co_u32 v10, vcc_lo, v0, v10
	s_delay_alu instid0(VALU_DEP_3) | instskip(SKIP_1) | instid1(VALU_DEP_3)
	v_add_co_ci_u32_e32 v13, vcc_lo, v1, v11, vcc_lo
	v_xor_b32_e32 v14, v4, v15
	v_mul_hi_u32 v16, v12, v10
	s_delay_alu instid0(VALU_DEP_3) | instskip(NEXT) | instid1(VALU_DEP_3)
	v_mad_u64_u32 v[0:1], null, v12, v13, 0
	v_mad_u64_u32 v[3:4], null, v14, v10, 0
	;; [unrolled: 1-line block ×3, first 2 shown]
	s_delay_alu instid0(VALU_DEP_3) | instskip(NEXT) | instid1(VALU_DEP_4)
	v_add_co_u32 v0, vcc_lo, v16, v0
	v_add_co_ci_u32_e32 v1, vcc_lo, 0, v1, vcc_lo
	s_delay_alu instid0(VALU_DEP_2) | instskip(NEXT) | instid1(VALU_DEP_2)
	v_add_co_u32 v0, vcc_lo, v0, v3
	v_add_co_ci_u32_e32 v0, vcc_lo, v1, v4, vcc_lo
	v_add_co_ci_u32_e32 v1, vcc_lo, 0, v11, vcc_lo
	s_delay_alu instid0(VALU_DEP_2) | instskip(NEXT) | instid1(VALU_DEP_2)
	v_add_co_u32 v3, vcc_lo, v0, v10
	v_add_co_ci_u32_e32 v4, vcc_lo, 0, v1, vcc_lo
	s_delay_alu instid0(VALU_DEP_2) | instskip(SKIP_1) | instid1(VALU_DEP_3)
	v_mul_lo_u32 v10, s11, v3
	v_mad_u64_u32 v[0:1], null, s10, v3, 0
	v_mul_lo_u32 v4, s10, v4
	s_delay_alu instid0(VALU_DEP_2) | instskip(NEXT) | instid1(VALU_DEP_2)
	v_sub_co_u32 v0, vcc_lo, v12, v0
	v_add3_u32 v1, v1, v4, v10
	v_add_co_u32 v10, s0, v3, 2
	s_delay_alu instid0(VALU_DEP_2) | instskip(NEXT) | instid1(VALU_DEP_1)
	v_sub_nc_u32_e32 v4, v14, v1
	v_subrev_co_ci_u32_e64 v4, s0, s11, v4, vcc_lo
	v_sub_co_u32 v11, s0, v0, s10
	v_sub_co_ci_u32_e32 v1, vcc_lo, v14, v1, vcc_lo
	s_delay_alu instid0(VALU_DEP_3) | instskip(NEXT) | instid1(VALU_DEP_3)
	v_subrev_co_ci_u32_e64 v4, s0, 0, v4, s0
	v_cmp_le_u32_e32 vcc_lo, s10, v11
	v_cndmask_b32_e64 v11, 0, -1, vcc_lo
	s_delay_alu instid0(VALU_DEP_3)
	v_cmp_le_u32_e32 vcc_lo, s11, v4
	v_cndmask_b32_e64 v12, 0, -1, vcc_lo
	v_cmp_le_u32_e32 vcc_lo, s10, v0
	v_cndmask_b32_e64 v0, 0, -1, vcc_lo
	;; [unrolled: 2-line block ×3, first 2 shown]
	v_cmp_eq_u32_e32 vcc_lo, s11, v4
	v_cndmask_b32_e32 v4, v12, v11, vcc_lo
	v_add_co_u32 v11, vcc_lo, v3, 1
	v_cmp_eq_u32_e32 vcc_lo, s11, v1
	v_cndmask_b32_e32 v0, v13, v0, vcc_lo
	s_delay_alu instid0(VALU_DEP_4) | instskip(NEXT) | instid1(VALU_DEP_4)
	v_cmp_ne_u32_e32 vcc_lo, 0, v4
	v_cndmask_b32_e32 v1, v11, v10, vcc_lo
	s_delay_alu instid0(VALU_DEP_3) | instskip(NEXT) | instid1(VALU_DEP_2)
	v_cmp_ne_u32_e32 vcc_lo, 0, v0
	v_cndmask_b32_e32 v0, v3, v1, vcc_lo
	v_xor_b32_e32 v1, s8, v15
                                        ; implicit-def: $vgpr3
	s_delay_alu instid0(VALU_DEP_1) | instskip(NEXT) | instid1(VALU_DEP_1)
	v_xor_b32_e32 v0, v0, v1
	v_sub_co_u32 v0, vcc_lo, v0, v1
.LBB2_27:
	s_and_not1_saveexec_b32 s0, s17
	s_cbranch_execz .LBB2_29
; %bb.28:
	v_cvt_f32_u32_e32 v0, s12
	s_sub_i32 s8, 0, s12
	s_delay_alu instid0(VALU_DEP_1) | instskip(SKIP_2) | instid1(VALU_DEP_1)
	v_rcp_iflag_f32_e32 v0, v0
	s_waitcnt_depctr 0xfff
	v_mul_f32_e32 v0, 0x4f7ffffe, v0
	v_cvt_u32_f32_e32 v0, v0
	s_delay_alu instid0(VALU_DEP_1) | instskip(NEXT) | instid1(VALU_DEP_1)
	v_mul_lo_u32 v1, s8, v0
	v_mul_hi_u32 v1, v0, v1
	s_delay_alu instid0(VALU_DEP_1) | instskip(NEXT) | instid1(VALU_DEP_1)
	v_add_nc_u32_e32 v0, v0, v1
	v_mul_hi_u32 v0, v3, v0
	s_delay_alu instid0(VALU_DEP_1) | instskip(NEXT) | instid1(VALU_DEP_1)
	v_mul_lo_u32 v1, v0, s12
	v_sub_nc_u32_e32 v1, v3, v1
	v_add_nc_u32_e32 v3, 1, v0
	s_delay_alu instid0(VALU_DEP_2) | instskip(SKIP_1) | instid1(VALU_DEP_2)
	v_subrev_nc_u32_e32 v4, s12, v1
	v_cmp_le_u32_e32 vcc_lo, s12, v1
	v_dual_cndmask_b32 v1, v1, v4 :: v_dual_cndmask_b32 v0, v0, v3
	s_delay_alu instid0(VALU_DEP_1) | instskip(NEXT) | instid1(VALU_DEP_2)
	v_cmp_le_u32_e32 vcc_lo, s12, v1
	v_add_nc_u32_e32 v3, 1, v0
	s_delay_alu instid0(VALU_DEP_1)
	v_cndmask_b32_e32 v0, v0, v3, vcc_lo
.LBB2_29:
	s_or_b32 exec_lo, exec_lo, s0
.LBB2_30:
	s_delay_alu instid0(SALU_CYCLE_1)
	s_or_b32 exec_lo, exec_lo, s16
	s_and_saveexec_b32 s8, s1
	s_cbranch_execz .LBB2_36
; %bb.31:
	v_or_b32_e32 v1, 1, v9
	v_cmp_ne_u32_e32 vcc_lo, 1, v2
	s_delay_alu instid0(VALU_DEP_2) | instskip(NEXT) | instid1(VALU_DEP_1)
	v_cmp_gt_u32_e64 s0, s14, v1
	v_mov_b32_e32 v1, s0
	s_cbranch_vccnz .LBB2_34
; %bb.32:
	v_mov_b32_e32 v1, s0
	s_mov_b32 s1, 0
	s_sub_i32 s9, 0, s15
.LBB2_33:                               ; =>This Inner Loop Header: Depth=1
	s_add_i32 s10, s1, 31
	s_add_i32 s1, s1, -1
	v_lshlrev_b32_e32 v3, s10, v0
	s_cmp_lg_u32 s9, s1
	s_delay_alu instid0(VALU_DEP_1) | instskip(SKIP_1) | instid1(VALU_DEP_2)
	v_not_b32_e32 v4, v3
	v_cmp_gt_i32_e32 vcc_lo, 0, v3
	v_ashrrev_i32_e32 v3, 31, v4
	s_delay_alu instid0(VALU_DEP_1) | instskip(NEXT) | instid1(VALU_DEP_1)
	v_xor_b32_e32 v3, vcc_lo, v3
	v_and_b32_e32 v1, v3, v1
	s_cbranch_scc1 .LBB2_33
.LBB2_34:
	s_delay_alu instid0(VALU_DEP_1) | instskip(NEXT) | instid1(VALU_DEP_1)
	v_cndmask_b32_e64 v3, 0, v1, s0
	v_mbcnt_lo_u32_b32 v1, v3, 0
	v_cmp_ne_u32_e64 s0, 0, v3
	s_delay_alu instid0(VALU_DEP_2) | instskip(NEXT) | instid1(VALU_DEP_2)
	v_cmp_eq_u32_e32 vcc_lo, 0, v1
	s_and_b32 s0, s0, vcc_lo
	s_delay_alu instid0(SALU_CYCLE_1)
	s_and_b32 exec_lo, exec_lo, s0
	s_cbranch_execz .LBB2_36
; %bb.35:
	v_mov_b32_e32 v1, 0
	v_bcnt_u32_b32 v3, v3, 0
	s_delay_alu instid0(VALU_DEP_2) | instskip(SKIP_1) | instid1(VALU_DEP_2)
	v_lshlrev_b64 v[10:11], 3, v[0:1]
	v_mov_b32_e32 v4, v1
	v_add_co_u32 v10, vcc_lo, s2, v10
	s_delay_alu instid0(VALU_DEP_3)
	v_add_co_ci_u32_e32 v11, vcc_lo, s3, v11, vcc_lo
	global_atomic_add_u64 v[10:11], v[3:4], off
.LBB2_36:
	s_or_b32 exec_lo, exec_lo, s8
	v_cmp_le_i64_e32 vcc_lo, s[4:5], v[5:6]
	v_cmp_gt_i64_e64 s0, s[6:7], v[5:6]
	s_delay_alu instid0(VALU_DEP_1) | instskip(NEXT) | instid1(SALU_CYCLE_1)
	s_and_b32 s1, vcc_lo, s0
	s_and_saveexec_b32 s16, s1
	s_cbranch_execz .LBB2_42
; %bb.37:
	v_sub_co_u32 v3, vcc_lo, v5, s4
	v_subrev_co_ci_u32_e32 v4, vcc_lo, s5, v6, vcc_lo
	v_mov_b32_e32 v0, 0
	s_delay_alu instid0(VALU_DEP_2) | instskip(NEXT) | instid1(VALU_DEP_1)
	v_or_b32_e32 v1, s13, v4
	v_cmp_ne_u64_e32 vcc_lo, 0, v[0:1]
                                        ; implicit-def: $vgpr0_vgpr1
	s_and_saveexec_b32 s0, vcc_lo
	s_delay_alu instid0(SALU_CYCLE_1)
	s_xor_b32 s17, exec_lo, s0
	s_cbranch_execz .LBB2_39
; %bb.38:
	s_ashr_i32 s8, s13, 31
	s_delay_alu instid0(SALU_CYCLE_1) | instskip(SKIP_2) | instid1(SALU_CYCLE_1)
	s_add_u32 s10, s12, s8
	s_mov_b32 s9, s8
	s_addc_u32 s11, s13, s8
	s_xor_b64 s[10:11], s[10:11], s[8:9]
	s_delay_alu instid0(SALU_CYCLE_1) | instskip(SKIP_3) | instid1(VALU_DEP_1)
	v_cvt_f32_u32_e32 v0, s10
	v_cvt_f32_u32_e32 v1, s11
	s_sub_u32 s0, 0, s10
	s_subb_u32 s9, 0, s11
	v_fmamk_f32 v0, v1, 0x4f800000, v0
	s_delay_alu instid0(VALU_DEP_1) | instskip(SKIP_2) | instid1(VALU_DEP_1)
	v_rcp_f32_e32 v0, v0
	s_waitcnt_depctr 0xfff
	v_mul_f32_e32 v0, 0x5f7ffffc, v0
	v_mul_f32_e32 v1, 0x2f800000, v0
	s_delay_alu instid0(VALU_DEP_1) | instskip(NEXT) | instid1(VALU_DEP_1)
	v_trunc_f32_e32 v1, v1
	v_fmamk_f32 v0, v1, 0xcf800000, v0
	v_cvt_u32_f32_e32 v1, v1
	s_delay_alu instid0(VALU_DEP_2) | instskip(NEXT) | instid1(VALU_DEP_2)
	v_cvt_u32_f32_e32 v0, v0
	v_mul_lo_u32 v5, s0, v1
	s_delay_alu instid0(VALU_DEP_2) | instskip(SKIP_1) | instid1(VALU_DEP_2)
	v_mul_hi_u32 v6, s0, v0
	v_mul_lo_u32 v10, s9, v0
	v_add_nc_u32_e32 v5, v6, v5
	v_mul_lo_u32 v6, s0, v0
	s_delay_alu instid0(VALU_DEP_2) | instskip(NEXT) | instid1(VALU_DEP_2)
	v_add_nc_u32_e32 v5, v5, v10
	v_mul_hi_u32 v10, v0, v6
	s_delay_alu instid0(VALU_DEP_2)
	v_mul_lo_u32 v11, v0, v5
	v_mul_hi_u32 v12, v0, v5
	v_mul_hi_u32 v13, v1, v6
	v_mul_lo_u32 v6, v1, v6
	v_mul_hi_u32 v14, v1, v5
	v_mul_lo_u32 v5, v1, v5
	v_add_co_u32 v10, vcc_lo, v10, v11
	v_add_co_ci_u32_e32 v11, vcc_lo, 0, v12, vcc_lo
	s_delay_alu instid0(VALU_DEP_2) | instskip(NEXT) | instid1(VALU_DEP_2)
	v_add_co_u32 v6, vcc_lo, v10, v6
	v_add_co_ci_u32_e32 v6, vcc_lo, v11, v13, vcc_lo
	v_add_co_ci_u32_e32 v10, vcc_lo, 0, v14, vcc_lo
	v_ashrrev_i32_e32 v13, 31, v4
	s_delay_alu instid0(VALU_DEP_3) | instskip(NEXT) | instid1(VALU_DEP_3)
	v_add_co_u32 v5, vcc_lo, v6, v5
	v_add_co_ci_u32_e32 v6, vcc_lo, 0, v10, vcc_lo
	s_delay_alu instid0(VALU_DEP_2) | instskip(NEXT) | instid1(VALU_DEP_2)
	v_add_co_u32 v0, vcc_lo, v0, v5
	v_add_co_ci_u32_e32 v1, vcc_lo, v1, v6, vcc_lo
	s_delay_alu instid0(VALU_DEP_2) | instskip(SKIP_1) | instid1(VALU_DEP_3)
	v_mul_hi_u32 v5, s0, v0
	v_mul_lo_u32 v10, s9, v0
	v_mul_lo_u32 v6, s0, v1
	s_delay_alu instid0(VALU_DEP_1) | instskip(SKIP_1) | instid1(VALU_DEP_2)
	v_add_nc_u32_e32 v5, v5, v6
	v_mul_lo_u32 v6, s0, v0
	v_add_nc_u32_e32 v5, v5, v10
	s_delay_alu instid0(VALU_DEP_2) | instskip(NEXT) | instid1(VALU_DEP_2)
	v_mul_hi_u32 v10, v0, v6
	v_mul_lo_u32 v11, v0, v5
	v_mul_hi_u32 v12, v0, v5
	v_mul_hi_u32 v14, v1, v6
	v_mul_lo_u32 v6, v1, v6
	v_mul_hi_u32 v15, v1, v5
	v_mul_lo_u32 v5, v1, v5
	v_add_co_u32 v10, vcc_lo, v10, v11
	v_add_co_ci_u32_e32 v11, vcc_lo, 0, v12, vcc_lo
	s_delay_alu instid0(VALU_DEP_2) | instskip(NEXT) | instid1(VALU_DEP_2)
	v_add_co_u32 v6, vcc_lo, v10, v6
	v_add_co_ci_u32_e32 v6, vcc_lo, v11, v14, vcc_lo
	v_add_co_ci_u32_e32 v10, vcc_lo, 0, v15, vcc_lo
	v_add_co_u32 v3, vcc_lo, v3, v13
	v_add_co_ci_u32_e32 v4, vcc_lo, v4, v13, vcc_lo
	s_delay_alu instid0(VALU_DEP_4) | instskip(NEXT) | instid1(VALU_DEP_4)
	v_add_co_u32 v5, vcc_lo, v6, v5
	v_add_co_ci_u32_e32 v6, vcc_lo, 0, v10, vcc_lo
	s_delay_alu instid0(VALU_DEP_4) | instskip(NEXT) | instid1(VALU_DEP_3)
	v_xor_b32_e32 v10, v3, v13
	v_add_co_u32 v5, vcc_lo, v0, v5
	s_delay_alu instid0(VALU_DEP_3) | instskip(SKIP_1) | instid1(VALU_DEP_3)
	v_add_co_ci_u32_e32 v11, vcc_lo, v1, v6, vcc_lo
	v_xor_b32_e32 v12, v4, v13
	v_mul_hi_u32 v14, v10, v5
	s_delay_alu instid0(VALU_DEP_3) | instskip(NEXT) | instid1(VALU_DEP_3)
	v_mad_u64_u32 v[0:1], null, v10, v11, 0
	v_mad_u64_u32 v[3:4], null, v12, v5, 0
	v_mad_u64_u32 v[5:6], null, v12, v11, 0
	s_delay_alu instid0(VALU_DEP_3) | instskip(NEXT) | instid1(VALU_DEP_4)
	v_add_co_u32 v0, vcc_lo, v14, v0
	v_add_co_ci_u32_e32 v1, vcc_lo, 0, v1, vcc_lo
	s_delay_alu instid0(VALU_DEP_2) | instskip(NEXT) | instid1(VALU_DEP_2)
	v_add_co_u32 v0, vcc_lo, v0, v3
	v_add_co_ci_u32_e32 v0, vcc_lo, v1, v4, vcc_lo
	v_add_co_ci_u32_e32 v1, vcc_lo, 0, v6, vcc_lo
	s_delay_alu instid0(VALU_DEP_2) | instskip(NEXT) | instid1(VALU_DEP_2)
	v_add_co_u32 v3, vcc_lo, v0, v5
	v_add_co_ci_u32_e32 v4, vcc_lo, 0, v1, vcc_lo
	s_delay_alu instid0(VALU_DEP_2) | instskip(SKIP_1) | instid1(VALU_DEP_3)
	v_mul_lo_u32 v5, s11, v3
	v_mad_u64_u32 v[0:1], null, s10, v3, 0
	v_mul_lo_u32 v4, s10, v4
	s_delay_alu instid0(VALU_DEP_2) | instskip(NEXT) | instid1(VALU_DEP_2)
	v_sub_co_u32 v0, vcc_lo, v10, v0
	v_add3_u32 v1, v1, v4, v5
	v_add_co_u32 v5, s0, v3, 2
	s_delay_alu instid0(VALU_DEP_2) | instskip(NEXT) | instid1(VALU_DEP_1)
	v_sub_nc_u32_e32 v4, v12, v1
	v_subrev_co_ci_u32_e64 v4, s0, s11, v4, vcc_lo
	v_sub_co_u32 v6, s0, v0, s10
	v_sub_co_ci_u32_e32 v1, vcc_lo, v12, v1, vcc_lo
	s_delay_alu instid0(VALU_DEP_3) | instskip(NEXT) | instid1(VALU_DEP_3)
	v_subrev_co_ci_u32_e64 v4, s0, 0, v4, s0
	v_cmp_le_u32_e32 vcc_lo, s10, v6
	v_cndmask_b32_e64 v6, 0, -1, vcc_lo
	s_delay_alu instid0(VALU_DEP_3)
	v_cmp_le_u32_e32 vcc_lo, s11, v4
	v_cndmask_b32_e64 v10, 0, -1, vcc_lo
	v_cmp_le_u32_e32 vcc_lo, s10, v0
	v_cndmask_b32_e64 v0, 0, -1, vcc_lo
	v_cmp_le_u32_e32 vcc_lo, s11, v1
	v_cndmask_b32_e64 v11, 0, -1, vcc_lo
	v_cmp_eq_u32_e32 vcc_lo, s11, v4
	v_cndmask_b32_e32 v4, v10, v6, vcc_lo
	v_add_co_u32 v6, vcc_lo, v3, 1
	v_cmp_eq_u32_e32 vcc_lo, s11, v1
	v_cndmask_b32_e32 v0, v11, v0, vcc_lo
	s_delay_alu instid0(VALU_DEP_4) | instskip(NEXT) | instid1(VALU_DEP_4)
	v_cmp_ne_u32_e32 vcc_lo, 0, v4
	v_cndmask_b32_e32 v1, v6, v5, vcc_lo
	s_delay_alu instid0(VALU_DEP_3) | instskip(NEXT) | instid1(VALU_DEP_2)
	v_cmp_ne_u32_e32 vcc_lo, 0, v0
	v_cndmask_b32_e32 v0, v3, v1, vcc_lo
	v_xor_b32_e32 v1, s8, v13
                                        ; implicit-def: $vgpr3
	s_delay_alu instid0(VALU_DEP_1) | instskip(NEXT) | instid1(VALU_DEP_1)
	v_xor_b32_e32 v0, v0, v1
	v_sub_co_u32 v0, vcc_lo, v0, v1
.LBB2_39:
	s_and_not1_saveexec_b32 s0, s17
	s_cbranch_execz .LBB2_41
; %bb.40:
	v_cvt_f32_u32_e32 v0, s12
	s_sub_i32 s8, 0, s12
	s_delay_alu instid0(VALU_DEP_1) | instskip(SKIP_2) | instid1(VALU_DEP_1)
	v_rcp_iflag_f32_e32 v0, v0
	s_waitcnt_depctr 0xfff
	v_mul_f32_e32 v0, 0x4f7ffffe, v0
	v_cvt_u32_f32_e32 v0, v0
	s_delay_alu instid0(VALU_DEP_1) | instskip(NEXT) | instid1(VALU_DEP_1)
	v_mul_lo_u32 v1, s8, v0
	v_mul_hi_u32 v1, v0, v1
	s_delay_alu instid0(VALU_DEP_1) | instskip(NEXT) | instid1(VALU_DEP_1)
	v_add_nc_u32_e32 v0, v0, v1
	v_mul_hi_u32 v0, v3, v0
	s_delay_alu instid0(VALU_DEP_1) | instskip(NEXT) | instid1(VALU_DEP_1)
	v_mul_lo_u32 v1, v0, s12
	v_sub_nc_u32_e32 v1, v3, v1
	v_add_nc_u32_e32 v3, 1, v0
	s_delay_alu instid0(VALU_DEP_2) | instskip(SKIP_1) | instid1(VALU_DEP_2)
	v_subrev_nc_u32_e32 v4, s12, v1
	v_cmp_le_u32_e32 vcc_lo, s12, v1
	v_dual_cndmask_b32 v1, v1, v4 :: v_dual_cndmask_b32 v0, v0, v3
	s_delay_alu instid0(VALU_DEP_1) | instskip(NEXT) | instid1(VALU_DEP_2)
	v_cmp_le_u32_e32 vcc_lo, s12, v1
	v_add_nc_u32_e32 v3, 1, v0
	s_delay_alu instid0(VALU_DEP_1)
	v_cndmask_b32_e32 v0, v0, v3, vcc_lo
.LBB2_41:
	s_or_b32 exec_lo, exec_lo, s0
.LBB2_42:
	s_delay_alu instid0(SALU_CYCLE_1)
	s_or_b32 exec_lo, exec_lo, s16
	s_and_saveexec_b32 s8, s1
	s_cbranch_execz .LBB2_48
; %bb.43:
	v_or_b32_e32 v1, 2, v9
	v_cmp_ne_u32_e32 vcc_lo, 1, v2
	s_delay_alu instid0(VALU_DEP_2) | instskip(NEXT) | instid1(VALU_DEP_1)
	v_cmp_gt_u32_e64 s0, s14, v1
	v_mov_b32_e32 v1, s0
	s_cbranch_vccnz .LBB2_46
; %bb.44:
	v_mov_b32_e32 v1, s0
	s_mov_b32 s1, 0
	s_sub_i32 s9, 0, s15
.LBB2_45:                               ; =>This Inner Loop Header: Depth=1
	s_add_i32 s10, s1, 31
	s_add_i32 s1, s1, -1
	v_lshlrev_b32_e32 v3, s10, v0
	s_cmp_lg_u32 s9, s1
	s_delay_alu instid0(VALU_DEP_1) | instskip(SKIP_1) | instid1(VALU_DEP_2)
	v_not_b32_e32 v4, v3
	v_cmp_gt_i32_e32 vcc_lo, 0, v3
	v_ashrrev_i32_e32 v3, 31, v4
	s_delay_alu instid0(VALU_DEP_1) | instskip(NEXT) | instid1(VALU_DEP_1)
	v_xor_b32_e32 v3, vcc_lo, v3
	v_and_b32_e32 v1, v3, v1
	s_cbranch_scc1 .LBB2_45
.LBB2_46:
	s_delay_alu instid0(VALU_DEP_1) | instskip(NEXT) | instid1(VALU_DEP_1)
	v_cndmask_b32_e64 v3, 0, v1, s0
	v_mbcnt_lo_u32_b32 v1, v3, 0
	v_cmp_ne_u32_e64 s0, 0, v3
	s_delay_alu instid0(VALU_DEP_2) | instskip(NEXT) | instid1(VALU_DEP_2)
	v_cmp_eq_u32_e32 vcc_lo, 0, v1
	s_and_b32 s0, s0, vcc_lo
	s_delay_alu instid0(SALU_CYCLE_1)
	s_and_b32 exec_lo, exec_lo, s0
	s_cbranch_execz .LBB2_48
; %bb.47:
	v_mov_b32_e32 v1, 0
	v_bcnt_u32_b32 v3, v3, 0
	s_delay_alu instid0(VALU_DEP_2) | instskip(NEXT) | instid1(VALU_DEP_1)
	v_lshlrev_b64 v[4:5], 3, v[0:1]
	v_add_co_u32 v10, vcc_lo, s2, v4
	s_delay_alu instid0(VALU_DEP_2)
	v_add_co_ci_u32_e32 v11, vcc_lo, s3, v5, vcc_lo
	v_mov_b32_e32 v4, v1
	global_atomic_add_u64 v[10:11], v[3:4], off
.LBB2_48:
	s_or_b32 exec_lo, exec_lo, s8
	v_cmp_le_i64_e32 vcc_lo, s[4:5], v[7:8]
	v_cmp_gt_i64_e64 s0, s[6:7], v[7:8]
	s_delay_alu instid0(VALU_DEP_1) | instskip(NEXT) | instid1(SALU_CYCLE_1)
	s_and_b32 s1, vcc_lo, s0
	s_and_saveexec_b32 s8, s1
	s_cbranch_execz .LBB2_54
; %bb.49:
	v_sub_co_u32 v3, vcc_lo, v7, s4
	v_subrev_co_ci_u32_e32 v4, vcc_lo, s5, v8, vcc_lo
	v_mov_b32_e32 v0, 0
	s_delay_alu instid0(VALU_DEP_2) | instskip(NEXT) | instid1(VALU_DEP_1)
	v_or_b32_e32 v1, s13, v4
	v_cmp_ne_u64_e32 vcc_lo, 0, v[0:1]
                                        ; implicit-def: $vgpr0_vgpr1
	s_and_saveexec_b32 s0, vcc_lo
	s_delay_alu instid0(SALU_CYCLE_1)
	s_xor_b32 s9, exec_lo, s0
	s_cbranch_execz .LBB2_51
; %bb.50:
	s_ashr_i32 s4, s13, 31
	s_delay_alu instid0(SALU_CYCLE_1) | instskip(SKIP_2) | instid1(SALU_CYCLE_1)
	s_add_u32 s6, s12, s4
	s_mov_b32 s5, s4
	s_addc_u32 s7, s13, s4
	s_xor_b64 s[6:7], s[6:7], s[4:5]
	s_delay_alu instid0(SALU_CYCLE_1) | instskip(SKIP_3) | instid1(VALU_DEP_1)
	v_cvt_f32_u32_e32 v0, s6
	v_cvt_f32_u32_e32 v1, s7
	s_sub_u32 s0, 0, s6
	s_subb_u32 s5, 0, s7
	v_fmamk_f32 v0, v1, 0x4f800000, v0
	s_delay_alu instid0(VALU_DEP_1) | instskip(SKIP_2) | instid1(VALU_DEP_1)
	v_rcp_f32_e32 v0, v0
	s_waitcnt_depctr 0xfff
	v_mul_f32_e32 v0, 0x5f7ffffc, v0
	v_mul_f32_e32 v1, 0x2f800000, v0
	s_delay_alu instid0(VALU_DEP_1) | instskip(NEXT) | instid1(VALU_DEP_1)
	v_trunc_f32_e32 v1, v1
	v_fmamk_f32 v0, v1, 0xcf800000, v0
	v_cvt_u32_f32_e32 v1, v1
	s_delay_alu instid0(VALU_DEP_2) | instskip(NEXT) | instid1(VALU_DEP_2)
	v_cvt_u32_f32_e32 v0, v0
	v_mul_lo_u32 v5, s0, v1
	s_delay_alu instid0(VALU_DEP_2) | instskip(SKIP_1) | instid1(VALU_DEP_2)
	v_mul_hi_u32 v6, s0, v0
	v_mul_lo_u32 v7, s5, v0
	v_add_nc_u32_e32 v5, v6, v5
	v_mul_lo_u32 v6, s0, v0
	s_delay_alu instid0(VALU_DEP_2) | instskip(NEXT) | instid1(VALU_DEP_2)
	v_add_nc_u32_e32 v5, v5, v7
	v_mul_hi_u32 v7, v0, v6
	s_delay_alu instid0(VALU_DEP_2)
	v_mul_lo_u32 v8, v0, v5
	v_mul_hi_u32 v10, v0, v5
	v_mul_hi_u32 v11, v1, v6
	v_mul_lo_u32 v6, v1, v6
	v_mul_hi_u32 v12, v1, v5
	v_mul_lo_u32 v5, v1, v5
	v_add_co_u32 v7, vcc_lo, v7, v8
	v_add_co_ci_u32_e32 v8, vcc_lo, 0, v10, vcc_lo
	s_delay_alu instid0(VALU_DEP_2) | instskip(NEXT) | instid1(VALU_DEP_2)
	v_add_co_u32 v6, vcc_lo, v7, v6
	v_add_co_ci_u32_e32 v6, vcc_lo, v8, v11, vcc_lo
	v_add_co_ci_u32_e32 v7, vcc_lo, 0, v12, vcc_lo
	v_ashrrev_i32_e32 v11, 31, v4
	s_delay_alu instid0(VALU_DEP_3) | instskip(NEXT) | instid1(VALU_DEP_3)
	v_add_co_u32 v5, vcc_lo, v6, v5
	v_add_co_ci_u32_e32 v6, vcc_lo, 0, v7, vcc_lo
	s_delay_alu instid0(VALU_DEP_2) | instskip(NEXT) | instid1(VALU_DEP_2)
	v_add_co_u32 v0, vcc_lo, v0, v5
	v_add_co_ci_u32_e32 v1, vcc_lo, v1, v6, vcc_lo
	s_delay_alu instid0(VALU_DEP_2) | instskip(SKIP_1) | instid1(VALU_DEP_3)
	v_mul_hi_u32 v5, s0, v0
	v_mul_lo_u32 v7, s5, v0
	v_mul_lo_u32 v6, s0, v1
	s_delay_alu instid0(VALU_DEP_1) | instskip(SKIP_1) | instid1(VALU_DEP_2)
	v_add_nc_u32_e32 v5, v5, v6
	v_mul_lo_u32 v6, s0, v0
	v_add_nc_u32_e32 v5, v5, v7
	s_delay_alu instid0(VALU_DEP_2) | instskip(NEXT) | instid1(VALU_DEP_2)
	v_mul_hi_u32 v7, v0, v6
	v_mul_lo_u32 v8, v0, v5
	v_mul_hi_u32 v10, v0, v5
	v_mul_hi_u32 v12, v1, v6
	v_mul_lo_u32 v6, v1, v6
	v_mul_hi_u32 v13, v1, v5
	v_mul_lo_u32 v5, v1, v5
	v_add_co_u32 v7, vcc_lo, v7, v8
	v_add_co_ci_u32_e32 v8, vcc_lo, 0, v10, vcc_lo
	s_delay_alu instid0(VALU_DEP_2) | instskip(NEXT) | instid1(VALU_DEP_2)
	v_add_co_u32 v6, vcc_lo, v7, v6
	v_add_co_ci_u32_e32 v6, vcc_lo, v8, v12, vcc_lo
	v_add_co_ci_u32_e32 v7, vcc_lo, 0, v13, vcc_lo
	v_add_co_u32 v3, vcc_lo, v3, v11
	v_add_co_ci_u32_e32 v4, vcc_lo, v4, v11, vcc_lo
	s_delay_alu instid0(VALU_DEP_4) | instskip(NEXT) | instid1(VALU_DEP_4)
	v_add_co_u32 v5, vcc_lo, v6, v5
	v_add_co_ci_u32_e32 v6, vcc_lo, 0, v7, vcc_lo
	s_delay_alu instid0(VALU_DEP_4) | instskip(NEXT) | instid1(VALU_DEP_3)
	v_xor_b32_e32 v7, v3, v11
	v_add_co_u32 v5, vcc_lo, v0, v5
	s_delay_alu instid0(VALU_DEP_3) | instskip(SKIP_1) | instid1(VALU_DEP_3)
	v_add_co_ci_u32_e32 v8, vcc_lo, v1, v6, vcc_lo
	v_xor_b32_e32 v10, v4, v11
	v_mul_hi_u32 v12, v7, v5
	s_delay_alu instid0(VALU_DEP_3) | instskip(NEXT) | instid1(VALU_DEP_3)
	v_mad_u64_u32 v[0:1], null, v7, v8, 0
	v_mad_u64_u32 v[3:4], null, v10, v5, 0
	;; [unrolled: 1-line block ×3, first 2 shown]
	s_delay_alu instid0(VALU_DEP_3) | instskip(NEXT) | instid1(VALU_DEP_4)
	v_add_co_u32 v0, vcc_lo, v12, v0
	v_add_co_ci_u32_e32 v1, vcc_lo, 0, v1, vcc_lo
	s_delay_alu instid0(VALU_DEP_2) | instskip(NEXT) | instid1(VALU_DEP_2)
	v_add_co_u32 v0, vcc_lo, v0, v3
	v_add_co_ci_u32_e32 v0, vcc_lo, v1, v4, vcc_lo
	v_add_co_ci_u32_e32 v1, vcc_lo, 0, v6, vcc_lo
	s_delay_alu instid0(VALU_DEP_2) | instskip(NEXT) | instid1(VALU_DEP_2)
	v_add_co_u32 v3, vcc_lo, v0, v5
	v_add_co_ci_u32_e32 v4, vcc_lo, 0, v1, vcc_lo
	s_delay_alu instid0(VALU_DEP_2) | instskip(SKIP_1) | instid1(VALU_DEP_3)
	v_mul_lo_u32 v5, s7, v3
	v_mad_u64_u32 v[0:1], null, s6, v3, 0
	v_mul_lo_u32 v4, s6, v4
	s_delay_alu instid0(VALU_DEP_2) | instskip(NEXT) | instid1(VALU_DEP_2)
	v_sub_co_u32 v0, vcc_lo, v7, v0
	v_add3_u32 v1, v1, v4, v5
	v_add_co_u32 v5, s0, v3, 2
	s_delay_alu instid0(VALU_DEP_2) | instskip(NEXT) | instid1(VALU_DEP_1)
	v_sub_nc_u32_e32 v4, v10, v1
	v_subrev_co_ci_u32_e64 v4, s0, s7, v4, vcc_lo
	v_sub_co_u32 v6, s0, v0, s6
	v_sub_co_ci_u32_e32 v1, vcc_lo, v10, v1, vcc_lo
	s_delay_alu instid0(VALU_DEP_3) | instskip(NEXT) | instid1(VALU_DEP_3)
	v_subrev_co_ci_u32_e64 v4, s0, 0, v4, s0
	v_cmp_le_u32_e32 vcc_lo, s6, v6
	v_cndmask_b32_e64 v6, 0, -1, vcc_lo
	s_delay_alu instid0(VALU_DEP_3)
	v_cmp_le_u32_e32 vcc_lo, s7, v4
	v_cndmask_b32_e64 v7, 0, -1, vcc_lo
	v_cmp_le_u32_e32 vcc_lo, s6, v0
	v_cndmask_b32_e64 v0, 0, -1, vcc_lo
	;; [unrolled: 2-line block ×3, first 2 shown]
	v_cmp_eq_u32_e32 vcc_lo, s7, v4
	v_cndmask_b32_e32 v4, v7, v6, vcc_lo
	v_add_co_u32 v6, vcc_lo, v3, 1
	v_cmp_eq_u32_e32 vcc_lo, s7, v1
	v_cndmask_b32_e32 v0, v8, v0, vcc_lo
	s_delay_alu instid0(VALU_DEP_4) | instskip(NEXT) | instid1(VALU_DEP_4)
	v_cmp_ne_u32_e32 vcc_lo, 0, v4
	v_cndmask_b32_e32 v1, v6, v5, vcc_lo
	s_delay_alu instid0(VALU_DEP_3) | instskip(NEXT) | instid1(VALU_DEP_2)
	v_cmp_ne_u32_e32 vcc_lo, 0, v0
	v_cndmask_b32_e32 v0, v3, v1, vcc_lo
	v_xor_b32_e32 v1, s4, v11
                                        ; implicit-def: $vgpr3
	s_delay_alu instid0(VALU_DEP_1) | instskip(NEXT) | instid1(VALU_DEP_1)
	v_xor_b32_e32 v0, v0, v1
	v_sub_co_u32 v0, vcc_lo, v0, v1
.LBB2_51:
	s_and_not1_saveexec_b32 s0, s9
	s_cbranch_execz .LBB2_53
; %bb.52:
	v_cvt_f32_u32_e32 v0, s12
	s_sub_i32 s4, 0, s12
	s_delay_alu instid0(VALU_DEP_1) | instskip(SKIP_2) | instid1(VALU_DEP_1)
	v_rcp_iflag_f32_e32 v0, v0
	s_waitcnt_depctr 0xfff
	v_mul_f32_e32 v0, 0x4f7ffffe, v0
	v_cvt_u32_f32_e32 v0, v0
	s_delay_alu instid0(VALU_DEP_1) | instskip(NEXT) | instid1(VALU_DEP_1)
	v_mul_lo_u32 v1, s4, v0
	v_mul_hi_u32 v1, v0, v1
	s_delay_alu instid0(VALU_DEP_1) | instskip(NEXT) | instid1(VALU_DEP_1)
	v_add_nc_u32_e32 v0, v0, v1
	v_mul_hi_u32 v0, v3, v0
	s_delay_alu instid0(VALU_DEP_1) | instskip(NEXT) | instid1(VALU_DEP_1)
	v_mul_lo_u32 v1, v0, s12
	v_sub_nc_u32_e32 v1, v3, v1
	v_add_nc_u32_e32 v3, 1, v0
	s_delay_alu instid0(VALU_DEP_2) | instskip(SKIP_1) | instid1(VALU_DEP_2)
	v_subrev_nc_u32_e32 v4, s12, v1
	v_cmp_le_u32_e32 vcc_lo, s12, v1
	v_dual_cndmask_b32 v1, v1, v4 :: v_dual_cndmask_b32 v0, v0, v3
	s_delay_alu instid0(VALU_DEP_1) | instskip(NEXT) | instid1(VALU_DEP_2)
	v_cmp_le_u32_e32 vcc_lo, s12, v1
	v_add_nc_u32_e32 v3, 1, v0
	s_delay_alu instid0(VALU_DEP_1)
	v_cndmask_b32_e32 v0, v0, v3, vcc_lo
.LBB2_53:
	s_or_b32 exec_lo, exec_lo, s0
.LBB2_54:
	s_delay_alu instid0(SALU_CYCLE_1)
	s_or_b32 exec_lo, exec_lo, s8
	s_and_saveexec_b32 s0, s1
	s_cbranch_execz .LBB2_60
; %bb.55:
	v_or_b32_e32 v1, 3, v9
	v_cmp_ne_u32_e32 vcc_lo, 1, v2
	s_delay_alu instid0(VALU_DEP_2) | instskip(NEXT) | instid1(VALU_DEP_1)
	v_cmp_gt_u32_e64 s0, s14, v1
	v_mov_b32_e32 v1, s0
	s_cbranch_vccnz .LBB2_58
; %bb.56:
	v_mov_b32_e32 v1, s0
	s_mov_b32 s1, 0
	s_sub_i32 s4, 0, s15
.LBB2_57:                               ; =>This Inner Loop Header: Depth=1
	s_add_i32 s5, s1, 31
	s_add_i32 s1, s1, -1
	v_lshlrev_b32_e32 v2, s5, v0
	s_cmp_lg_u32 s4, s1
	s_delay_alu instid0(VALU_DEP_1) | instskip(SKIP_1) | instid1(VALU_DEP_2)
	v_not_b32_e32 v3, v2
	v_cmp_gt_i32_e32 vcc_lo, 0, v2
	v_ashrrev_i32_e32 v2, 31, v3
	s_delay_alu instid0(VALU_DEP_1) | instskip(NEXT) | instid1(VALU_DEP_1)
	v_xor_b32_e32 v2, vcc_lo, v2
	v_and_b32_e32 v1, v2, v1
	s_cbranch_scc1 .LBB2_57
.LBB2_58:
	s_delay_alu instid0(VALU_DEP_1) | instskip(NEXT) | instid1(VALU_DEP_1)
	v_cndmask_b32_e64 v2, 0, v1, s0
	v_mbcnt_lo_u32_b32 v1, v2, 0
	v_cmp_ne_u32_e64 s0, 0, v2
	s_delay_alu instid0(VALU_DEP_2) | instskip(NEXT) | instid1(VALU_DEP_2)
	v_cmp_eq_u32_e32 vcc_lo, 0, v1
	s_and_b32 s0, s0, vcc_lo
	s_delay_alu instid0(SALU_CYCLE_1)
	s_and_b32 exec_lo, exec_lo, s0
	s_cbranch_execz .LBB2_60
; %bb.59:
	v_mov_b32_e32 v1, 0
	s_delay_alu instid0(VALU_DEP_1) | instskip(SKIP_1) | instid1(VALU_DEP_2)
	v_lshlrev_b64 v[3:4], 3, v[0:1]
	v_bcnt_u32_b32 v0, v2, 0
	v_add_co_u32 v3, vcc_lo, s2, v3
	s_delay_alu instid0(VALU_DEP_3)
	v_add_co_ci_u32_e32 v4, vcc_lo, s3, v4, vcc_lo
	global_atomic_add_u64 v[3:4], v[0:1], off
.LBB2_60:
	s_nop 0
	s_sendmsg sendmsg(MSG_DEALLOC_VGPRS)
	s_endpgm
	.section	.rodata,"a",@progbits
	.p2align	6, 0x0
	.amdhsa_kernel _ZN7rocprim6detail23histogram_global_kernelINS0_24wrapped_histogram_configINS_14default_configElLj1ELj1EEELj1ELj1EPlyNS0_18sample_to_bin_evenIlvEEEEvT2_jjNS0_11fixed_arrayIPT3_XT1_EEENS9_IT4_XT1_EEENS9_IjXT1_EEE
		.amdhsa_group_segment_fixed_size 0
		.amdhsa_private_segment_fixed_size 0
		.amdhsa_kernarg_size 60
		.amdhsa_user_sgpr_count 14
		.amdhsa_user_sgpr_dispatch_ptr 0
		.amdhsa_user_sgpr_queue_ptr 0
		.amdhsa_user_sgpr_kernarg_segment_ptr 1
		.amdhsa_user_sgpr_dispatch_id 0
		.amdhsa_user_sgpr_private_segment_size 0
		.amdhsa_wavefront_size32 1
		.amdhsa_uses_dynamic_stack 0
		.amdhsa_enable_private_segment 0
		.amdhsa_system_sgpr_workgroup_id_x 1
		.amdhsa_system_sgpr_workgroup_id_y 1
		.amdhsa_system_sgpr_workgroup_id_z 0
		.amdhsa_system_sgpr_workgroup_info 0
		.amdhsa_system_vgpr_workitem_id 0
		.amdhsa_next_free_vgpr 19
		.amdhsa_next_free_sgpr 18
		.amdhsa_reserve_vcc 1
		.amdhsa_float_round_mode_32 0
		.amdhsa_float_round_mode_16_64 0
		.amdhsa_float_denorm_mode_32 3
		.amdhsa_float_denorm_mode_16_64 3
		.amdhsa_dx10_clamp 1
		.amdhsa_ieee_mode 1
		.amdhsa_fp16_overflow 0
		.amdhsa_workgroup_processor_mode 1
		.amdhsa_memory_ordered 1
		.amdhsa_forward_progress 0
		.amdhsa_shared_vgpr_count 0
		.amdhsa_exception_fp_ieee_invalid_op 0
		.amdhsa_exception_fp_denorm_src 0
		.amdhsa_exception_fp_ieee_div_zero 0
		.amdhsa_exception_fp_ieee_overflow 0
		.amdhsa_exception_fp_ieee_underflow 0
		.amdhsa_exception_fp_ieee_inexact 0
		.amdhsa_exception_int_div_zero 0
	.end_amdhsa_kernel
	.section	.text._ZN7rocprim6detail23histogram_global_kernelINS0_24wrapped_histogram_configINS_14default_configElLj1ELj1EEELj1ELj1EPlyNS0_18sample_to_bin_evenIlvEEEEvT2_jjNS0_11fixed_arrayIPT3_XT1_EEENS9_IT4_XT1_EEENS9_IjXT1_EEE,"axG",@progbits,_ZN7rocprim6detail23histogram_global_kernelINS0_24wrapped_histogram_configINS_14default_configElLj1ELj1EEELj1ELj1EPlyNS0_18sample_to_bin_evenIlvEEEEvT2_jjNS0_11fixed_arrayIPT3_XT1_EEENS9_IT4_XT1_EEENS9_IjXT1_EEE,comdat
.Lfunc_end2:
	.size	_ZN7rocprim6detail23histogram_global_kernelINS0_24wrapped_histogram_configINS_14default_configElLj1ELj1EEELj1ELj1EPlyNS0_18sample_to_bin_evenIlvEEEEvT2_jjNS0_11fixed_arrayIPT3_XT1_EEENS9_IT4_XT1_EEENS9_IjXT1_EEE, .Lfunc_end2-_ZN7rocprim6detail23histogram_global_kernelINS0_24wrapped_histogram_configINS_14default_configElLj1ELj1EEELj1ELj1EPlyNS0_18sample_to_bin_evenIlvEEEEvT2_jjNS0_11fixed_arrayIPT3_XT1_EEENS9_IT4_XT1_EEENS9_IjXT1_EEE
                                        ; -- End function
	.section	.AMDGPU.csdata,"",@progbits
; Kernel info:
; codeLenInByte = 5232
; NumSgprs: 20
; NumVgprs: 19
; ScratchSize: 0
; MemoryBound: 1
; FloatMode: 240
; IeeeMode: 1
; LDSByteSize: 0 bytes/workgroup (compile time only)
; SGPRBlocks: 2
; VGPRBlocks: 2
; NumSGPRsForWavesPerEU: 20
; NumVGPRsForWavesPerEU: 19
; Occupancy: 16
; WaveLimiterHint : 1
; COMPUTE_PGM_RSRC2:SCRATCH_EN: 0
; COMPUTE_PGM_RSRC2:USER_SGPR: 14
; COMPUTE_PGM_RSRC2:TRAP_HANDLER: 0
; COMPUTE_PGM_RSRC2:TGID_X_EN: 1
; COMPUTE_PGM_RSRC2:TGID_Y_EN: 1
; COMPUTE_PGM_RSRC2:TGID_Z_EN: 0
; COMPUTE_PGM_RSRC2:TIDIG_COMP_CNT: 0
	.section	.text._ZN8rajaperf9algorithm24histogram_atomic_runtimeILl256EEEvPyPlllll,"axG",@progbits,_ZN8rajaperf9algorithm24histogram_atomic_runtimeILl256EEEvPyPlllll,comdat
	.protected	_ZN8rajaperf9algorithm24histogram_atomic_runtimeILl256EEEvPyPlllll ; -- Begin function _ZN8rajaperf9algorithm24histogram_atomic_runtimeILl256EEEvPyPlllll
	.globl	_ZN8rajaperf9algorithm24histogram_atomic_runtimeILl256EEEvPyPlllll
	.p2align	8
	.type	_ZN8rajaperf9algorithm24histogram_atomic_runtimeILl256EEEvPyPlllll,@function
_ZN8rajaperf9algorithm24histogram_atomic_runtimeILl256EEEvPyPlllll: ; @_ZN8rajaperf9algorithm24histogram_atomic_runtimeILl256EEEvPyPlllll
; %bb.0:
	s_mov_b32 s16, s15
	s_clause 0x1
	s_load_b128 s[12:15], s[0:1], 0x20
	s_load_b256 s[4:11], s[0:1], 0x0
	s_mov_b32 s17, -1
	s_waitcnt lgkmcnt(0)
	v_cmp_lt_i64_e64 s2, s[12:13], 1
	s_delay_alu instid0(VALU_DEP_1)
	s_and_b32 vcc_lo, exec_lo, s2
	s_cbranch_vccz .LBB3_5
; %bb.1:
	s_mov_b32 s17, 0
	s_mov_b32 s22, exec_lo
	s_lshl_b64 s[2:3], s[16:17], 8
	s_delay_alu instid0(SALU_CYCLE_1) | instskip(SKIP_1) | instid1(VALU_DEP_1)
	v_or_b32_e32 v1, s2, v0
	v_mov_b32_e32 v2, s3
	v_cmpx_gt_i64_e64 s[8:9], v[1:2]
	s_cbranch_execz .LBB3_4
; %bb.2:
	v_lshrrev_b64 v[3:4], 6, v[1:2]
	s_add_u32 s2, s14, -1
	s_addc_u32 s3, s15, -1
	s_lshl_b64 s[20:21], s[16:17], 11
	s_delay_alu instid0(VALU_DEP_1) | instskip(NEXT) | instid1(VALU_DEP_2)
	v_and_b32_e32 v4, s3, v4
	v_and_b32_e32 v5, s2, v3
	s_load_b32 s2, s[0:1], 0x30
	s_mov_b32 s3, 0
	s_delay_alu instid0(VALU_DEP_2) | instskip(NEXT) | instid1(VALU_DEP_2)
	v_mul_lo_u32 v6, v4, s10
	v_mul_lo_u32 v7, v5, s11
	v_mad_u64_u32 v[3:4], null, v5, s10, 0
	s_delay_alu instid0(VALU_DEP_1) | instskip(SKIP_1) | instid1(VALU_DEP_2)
	v_add3_u32 v4, v4, v7, v6
	v_lshlrev_b32_e32 v7, 3, v0
	v_lshlrev_b64 v[3:4], 3, v[3:4]
	s_waitcnt lgkmcnt(0)
	s_lshl_b64 s[18:19], s[2:3], 8
	s_add_u32 s15, s6, s20
	s_addc_u32 s20, s7, s21
	s_delay_alu instid0(VALU_DEP_1)
	v_add_co_u32 v5, vcc_lo, s4, v3
	v_add_co_u32 v3, s15, s15, v7
	v_add_co_ci_u32_e32 v6, vcc_lo, s5, v4, vcc_lo
	v_add_co_ci_u32_e64 v4, null, s20, 0, s15
	s_lshl_b64 s[20:21], s[2:3], 11
	.p2align	6
.LBB3_3:                                ; =>This Inner Loop Header: Depth=1
	global_load_b64 v[7:8], v[3:4], off
	v_mov_b32_e32 v9, 1
	v_mov_b32_e32 v10, 0
	v_add_co_u32 v3, s2, v3, s20
	s_delay_alu instid0(VALU_DEP_1) | instskip(SKIP_2) | instid1(VALU_DEP_1)
	v_add_co_ci_u32_e64 v4, s2, s21, v4, s2
	s_waitcnt vmcnt(0)
	v_lshlrev_b64 v[7:8], 3, v[7:8]
	v_add_co_u32 v7, vcc_lo, v5, v7
	s_delay_alu instid0(VALU_DEP_2)
	v_add_co_ci_u32_e32 v8, vcc_lo, v6, v8, vcc_lo
	v_add_co_u32 v1, vcc_lo, v1, s18
	v_add_co_ci_u32_e32 v2, vcc_lo, s19, v2, vcc_lo
	global_atomic_add_u64 v[7:8], v[9:10], off
	v_cmp_le_i64_e32 vcc_lo, s[8:9], v[1:2]
	s_or_b32 s3, vcc_lo, s3
	s_delay_alu instid0(SALU_CYCLE_1)
	s_and_not1_b32 exec_lo, exec_lo, s3
	s_cbranch_execnz .LBB3_3
.LBB3_4:
	s_or_b32 exec_lo, exec_lo, s22
.LBB3_5:
	s_delay_alu instid0(SALU_CYCLE_1)
	s_and_not1_b32 vcc_lo, exec_lo, s17
	s_cbranch_vccnz .LBB3_22
; %bb.6:
	s_mul_i32 s2, s12, s11
	s_mul_hi_u32 s3, s12, s10
	v_mov_b32_e32 v1, 0
	s_add_i32 s2, s3, s2
	s_mul_i32 s3, s13, s10
	s_mov_b32 s15, exec_lo
	s_add_i32 s3, s2, s3
	s_mul_i32 s2, s12, s10
	s_delay_alu instid0(SALU_CYCLE_1)
	v_cmpx_gt_i64_e64 s[2:3], v[0:1]
	s_cbranch_execz .LBB3_9
; %bb.7:
	v_mov_b32_e32 v5, v1
	v_lshl_add_u32 v6, v0, 3, 0
	v_mov_b32_e32 v2, v1
	v_dual_mov_b32 v3, v1 :: v_dual_mov_b32 v4, v0
	s_mov_b32 s17, 0
.LBB3_8:                                ; =>This Inner Loop Header: Depth=1
	s_delay_alu instid0(VALU_DEP_1)
	v_add_co_u32 v4, vcc_lo, 0x100, v4
	v_add_co_ci_u32_e32 v5, vcc_lo, 0, v5, vcc_lo
	ds_store_b64 v6, v[2:3]
	v_add_nc_u32_e32 v6, 0x800, v6
	v_cmp_le_i64_e32 vcc_lo, s[2:3], v[4:5]
	s_or_b32 s17, vcc_lo, s17
	s_delay_alu instid0(SALU_CYCLE_1)
	s_and_not1_b32 exec_lo, exec_lo, s17
	s_cbranch_execnz .LBB3_8
.LBB3_9:
	s_or_b32 exec_lo, exec_lo, s15
	s_mov_b32 s17, 0
	s_mov_b32 s15, exec_lo
	s_lshl_b64 s[2:3], s[16:17], 8
	s_waitcnt lgkmcnt(0)
	s_waitcnt_vscnt null, 0x0
	v_or_b32_e64 v3, s3, 0
	v_or_b32_e32 v2, s2, v0
	s_barrier
	buffer_gl0_inv
	v_cmpx_gt_i64_e64 s[8:9], v[2:3]
	s_cbranch_execz .LBB3_12
; %bb.10:
	s_load_b32 s0, s[0:1], 0x30
	s_add_i32 s2, s12, -1
	s_mov_b32 s1, s17
	v_lshlrev_b32_e32 v5, 3, v0
	s_lshl_b64 s[18:19], s[16:17], 11
	v_and_b32_e32 v4, s2, v0
	s_waitcnt lgkmcnt(0)
	s_lshl_b64 s[2:3], s[0:1], 8
	s_add_u32 s6, s6, s18
	s_addc_u32 s7, s7, s19
	v_add_co_u32 v5, s6, s6, v5
	s_delay_alu instid0(VALU_DEP_1)
	v_add_co_ci_u32_e64 v6, null, s7, 0, s6
	s_lshl_b64 s[6:7], s[0:1], 11
	.p2align	6
.LBB3_11:                               ; =>This Inner Loop Header: Depth=1
	global_load_b32 v9, v[5:6], off
	v_add_co_u32 v2, vcc_lo, v2, s2
	v_add_co_ci_u32_e32 v3, vcc_lo, s3, v3, vcc_lo
	s_delay_alu instid0(VALU_DEP_1)
	v_cmp_le_i64_e32 vcc_lo, s[8:9], v[2:3]
	s_or_b32 s17, vcc_lo, s17
	s_waitcnt vmcnt(0)
	v_mad_u64_u32 v[7:8], null, v9, s12, v[4:5]
	v_mov_b32_e32 v8, 1
	v_mov_b32_e32 v9, 0
	v_add_co_u32 v5, s0, v5, s6
	s_delay_alu instid0(VALU_DEP_1)
	v_add_co_ci_u32_e64 v6, s0, s7, v6, s0
	v_lshl_add_u32 v7, v7, 3, 0
	ds_add_u64 v7, v[8:9]
	s_and_not1_b32 exec_lo, exec_lo, s17
	s_cbranch_execnz .LBB3_11
.LBB3_12:
	s_or_b32 exec_lo, exec_lo, s15
	s_waitcnt lgkmcnt(0)
	s_barrier
	buffer_gl0_inv
	s_mov_b32 s0, exec_lo
	v_cmpx_gt_i64_e64 s[10:11], v[0:1]
	s_cbranch_execz .LBB3_22
; %bb.13:
	s_add_i32 s0, s14, -1
	v_cmp_gt_i64_e64 s6, s[12:13], 1
	s_and_b32 s0, s0, s16
	s_add_u32 s8, s12, -1
	s_mul_i32 s1, s0, s11
	s_mul_hi_u32 s2, s0, s10
	s_mul_i32 s0, s0, s10
	s_add_i32 s1, s2, s1
	s_delay_alu instid0(SALU_CYCLE_1)
	s_lshl_b64 s[2:3], s[0:1], 3
	s_mov_b32 s1, 0
	s_add_u32 s9, s4, s2
	s_addc_u32 s14, s5, s3
	s_and_b32 s0, s6, exec_lo
	s_cselect_b32 s2, s12, 1
	s_cselect_b32 s3, s13, 0
	s_and_b32 s0, s2, 7
	v_cmp_gt_i64_e64 s13, s[12:13], 7
	s_bitset0_b32 s3, 31
	s_and_b32 s2, s2, -8
	s_cmp_lg_u64 s[0:1], 0
	s_mov_b32 s16, s1
	s_cselect_b32 s15, -1, 0
	s_branch .LBB3_15
.LBB3_14:                               ;   in Loop: Header=BB3_15 Depth=1
	s_or_b32 exec_lo, exec_lo, s4
	v_add_co_u32 v0, vcc_lo, 0x100, v0
	v_add_co_ci_u32_e32 v1, vcc_lo, 0, v1, vcc_lo
	s_delay_alu instid0(VALU_DEP_1) | instskip(SKIP_1) | instid1(SALU_CYCLE_1)
	v_cmp_le_i64_e32 vcc_lo, s[10:11], v[0:1]
	s_or_b32 s16, vcc_lo, s16
	s_and_not1_b32 exec_lo, exec_lo, s16
	s_cbranch_execz .LBB3_22
.LBB3_15:                               ; =>This Loop Header: Depth=1
                                        ;     Child Loop BB3_17 Depth 2
                                        ;     Child Loop BB3_19 Depth 2
	v_mad_u64_u32 v[2:3], null, v0, s12, 0
	v_mov_b32_e32 v3, 0
	v_mov_b32_e32 v4, 0
	s_and_not1_b32 vcc_lo, exec_lo, s13
	s_mov_b64 s[4:5], 0
	s_cbranch_vccnz .LBB3_18
; %bb.16:                               ;   in Loop: Header=BB3_15 Depth=1
	v_mov_b32_e32 v3, 0
	v_mov_b32_e32 v4, 0
.LBB3_17:                               ;   Parent Loop BB3_15 Depth=1
                                        ; =>  This Inner Loop Header: Depth=2
	s_and_b32 s6, s4, s8
	s_add_i32 s7, s4, 1
	v_add_nc_u32_e32 v5, s6, v2
	s_and_b32 s6, s7, s8
	s_add_i32 s17, s4, 2
	v_add_nc_u32_e32 v6, s6, v2
	s_add_i32 s18, s4, 3
	v_lshl_add_u32 v5, v5, 3, 0
	s_and_b32 s7, s17, s8
	s_and_b32 s17, s18, s8
	v_add_nc_u32_e32 v7, s7, v2
	v_add_nc_u32_e32 v8, s17, v2
	v_lshl_add_u32 v13, v6, 3, 0
	ds_load_b64 v[5:6], v5
	s_add_i32 s19, s4, 4
	s_add_i32 s20, s4, 5
	s_and_b32 s18, s19, s8
	s_and_b32 s19, s20, s8
	v_add_nc_u32_e32 v9, s18, v2
	v_add_nc_u32_e32 v10, s19, v2
	v_lshl_add_u32 v14, v7, 3, 0
	v_lshl_add_u32 v15, v8, 3, 0
	ds_load_b64 v[7:8], v13
	s_add_i32 s21, s4, 6
	s_add_i32 s22, s4, 7
	s_and_b32 s20, s21, s8
	s_and_b32 s21, s22, s8
	v_lshl_add_u32 v13, v9, 3, 0
	v_lshl_add_u32 v16, v10, 3, 0
	ds_load_b64 v[9:10], v14
	v_add_nc_u32_e32 v11, s20, v2
	v_add_nc_u32_e32 v12, s21, v2
	s_add_u32 s4, s4, 8
	s_waitcnt lgkmcnt(2)
	v_add_co_u32 v5, vcc_lo, v5, v3
	v_lshl_add_u32 v17, v11, 3, 0
	v_lshl_add_u32 v18, v12, 3, 0
	ds_load_b64 v[11:12], v15
	ds_load_b64 v[13:14], v13
	v_add_co_ci_u32_e32 v6, vcc_lo, v6, v4, vcc_lo
	ds_load_b64 v[3:4], v16
	s_addc_u32 s5, s5, 0
	s_waitcnt lgkmcnt(4)
	v_add_co_u32 v7, vcc_lo, v7, v5
	v_add_co_ci_u32_e32 v8, vcc_lo, v8, v6, vcc_lo
	ds_load_b64 v[5:6], v17
	s_cmp_eq_u64 s[4:5], s[2:3]
	s_waitcnt lgkmcnt(4)
	v_add_co_u32 v9, vcc_lo, v9, v7
	v_add_co_ci_u32_e32 v10, vcc_lo, v10, v8, vcc_lo
	ds_load_b64 v[7:8], v18
	s_waitcnt lgkmcnt(4)
	v_add_co_u32 v9, vcc_lo, v11, v9
	v_add_co_ci_u32_e32 v10, vcc_lo, v12, v10, vcc_lo
	s_waitcnt lgkmcnt(3)
	s_delay_alu instid0(VALU_DEP_2) | instskip(NEXT) | instid1(VALU_DEP_2)
	v_add_co_u32 v9, vcc_lo, v13, v9
	v_add_co_ci_u32_e32 v10, vcc_lo, v14, v10, vcc_lo
	s_waitcnt lgkmcnt(2)
	s_delay_alu instid0(VALU_DEP_2) | instskip(NEXT) | instid1(VALU_DEP_2)
	;; [unrolled: 4-line block ×4, first 2 shown]
	v_add_co_u32 v3, vcc_lo, v7, v3
	v_add_co_ci_u32_e32 v4, vcc_lo, v8, v4, vcc_lo
	s_cbranch_scc0 .LBB3_17
.LBB3_18:                               ;   in Loop: Header=BB3_15 Depth=1
	s_and_not1_b32 vcc_lo, exec_lo, s15
	s_mov_b64 s[6:7], s[0:1]
	s_cbranch_vccnz .LBB3_20
.LBB3_19:                               ;   Parent Loop BB3_15 Depth=1
                                        ; =>  This Inner Loop Header: Depth=2
	s_and_b32 s17, s4, s8
	s_add_u32 s4, s4, 1
	v_add_nc_u32_e32 v5, s17, v2
	s_addc_u32 s5, s5, 0
	s_add_u32 s6, s6, -1
	s_addc_u32 s7, s7, -1
	s_delay_alu instid0(SALU_CYCLE_1)
	s_cmp_lg_u64 s[6:7], 0
	v_lshl_add_u32 v5, v5, 3, 0
	ds_load_b64 v[5:6], v5
	s_waitcnt lgkmcnt(0)
	v_add_co_u32 v3, vcc_lo, v5, v3
	v_add_co_ci_u32_e32 v4, vcc_lo, v6, v4, vcc_lo
	s_cbranch_scc1 .LBB3_19
.LBB3_20:                               ;   in Loop: Header=BB3_15 Depth=1
	s_mov_b32 s4, exec_lo
	s_delay_alu instid0(VALU_DEP_1)
	v_cmpx_ne_u64_e32 0, v[3:4]
	s_cbranch_execz .LBB3_14
; %bb.21:                               ;   in Loop: Header=BB3_15 Depth=1
	v_lshlrev_b64 v[5:6], 3, v[0:1]
	s_delay_alu instid0(VALU_DEP_1) | instskip(NEXT) | instid1(VALU_DEP_2)
	v_add_co_u32 v5, vcc_lo, s9, v5
	v_add_co_ci_u32_e32 v6, vcc_lo, s14, v6, vcc_lo
	global_atomic_add_u64 v[5:6], v[3:4], off
	s_branch .LBB3_14
.LBB3_22:
	s_nop 0
	s_sendmsg sendmsg(MSG_DEALLOC_VGPRS)
	s_endpgm
	.section	.rodata,"a",@progbits
	.p2align	6, 0x0
	.amdhsa_kernel _ZN8rajaperf9algorithm24histogram_atomic_runtimeILl256EEEvPyPlllll
		.amdhsa_group_segment_fixed_size 0
		.amdhsa_private_segment_fixed_size 0
		.amdhsa_kernarg_size 304
		.amdhsa_user_sgpr_count 15
		.amdhsa_user_sgpr_dispatch_ptr 0
		.amdhsa_user_sgpr_queue_ptr 0
		.amdhsa_user_sgpr_kernarg_segment_ptr 1
		.amdhsa_user_sgpr_dispatch_id 0
		.amdhsa_user_sgpr_private_segment_size 0
		.amdhsa_wavefront_size32 1
		.amdhsa_uses_dynamic_stack 0
		.amdhsa_enable_private_segment 0
		.amdhsa_system_sgpr_workgroup_id_x 1
		.amdhsa_system_sgpr_workgroup_id_y 0
		.amdhsa_system_sgpr_workgroup_id_z 0
		.amdhsa_system_sgpr_workgroup_info 0
		.amdhsa_system_vgpr_workitem_id 0
		.amdhsa_next_free_vgpr 19
		.amdhsa_next_free_sgpr 23
		.amdhsa_reserve_vcc 1
		.amdhsa_float_round_mode_32 0
		.amdhsa_float_round_mode_16_64 0
		.amdhsa_float_denorm_mode_32 3
		.amdhsa_float_denorm_mode_16_64 3
		.amdhsa_dx10_clamp 1
		.amdhsa_ieee_mode 1
		.amdhsa_fp16_overflow 0
		.amdhsa_workgroup_processor_mode 1
		.amdhsa_memory_ordered 1
		.amdhsa_forward_progress 0
		.amdhsa_shared_vgpr_count 0
		.amdhsa_exception_fp_ieee_invalid_op 0
		.amdhsa_exception_fp_denorm_src 0
		.amdhsa_exception_fp_ieee_div_zero 0
		.amdhsa_exception_fp_ieee_overflow 0
		.amdhsa_exception_fp_ieee_underflow 0
		.amdhsa_exception_fp_ieee_inexact 0
		.amdhsa_exception_int_div_zero 0
	.end_amdhsa_kernel
	.section	.text._ZN8rajaperf9algorithm24histogram_atomic_runtimeILl256EEEvPyPlllll,"axG",@progbits,_ZN8rajaperf9algorithm24histogram_atomic_runtimeILl256EEEvPyPlllll,comdat
.Lfunc_end3:
	.size	_ZN8rajaperf9algorithm24histogram_atomic_runtimeILl256EEEvPyPlllll, .Lfunc_end3-_ZN8rajaperf9algorithm24histogram_atomic_runtimeILl256EEEvPyPlllll
                                        ; -- End function
	.section	.AMDGPU.csdata,"",@progbits
; Kernel info:
; codeLenInByte = 1452
; NumSgprs: 25
; NumVgprs: 19
; ScratchSize: 0
; MemoryBound: 0
; FloatMode: 240
; IeeeMode: 1
; LDSByteSize: 0 bytes/workgroup (compile time only)
; SGPRBlocks: 3
; VGPRBlocks: 2
; NumSGPRsForWavesPerEU: 25
; NumVGPRsForWavesPerEU: 19
; Occupancy: 16
; WaveLimiterHint : 1
; COMPUTE_PGM_RSRC2:SCRATCH_EN: 0
; COMPUTE_PGM_RSRC2:USER_SGPR: 15
; COMPUTE_PGM_RSRC2:TRAP_HANDLER: 0
; COMPUTE_PGM_RSRC2:TGID_X_EN: 1
; COMPUTE_PGM_RSRC2:TGID_Y_EN: 0
; COMPUTE_PGM_RSRC2:TGID_Z_EN: 0
; COMPUTE_PGM_RSRC2:TIDIG_COMP_CNT: 0
	.section	.text._ZN4RAJA6policy3hip4impl18forallp_hip_kernelINS1_8hip_execINS_17iteration_mapping6DirectENS_3hip11IndexGlobalILNS_9named_dimE0ELi256ELi0EEENS7_40AvoidDeviceMaxThreadOccupancyConcretizerINS7_34FractionOffsetOccupancyConcretizerINS_8FractionImLm1ELm1EEELln1EEEEELb1EEENS_9Iterators16numeric_iteratorIllPlEEZN8rajaperf9algorithm9HISTOGRAM26runHipVariantAtomicRuntimeILl256ELl32ELl4ENSM_11gpu_mapping20global_direct_helperEEEvNSM_9VariantIDEEUllE_lNS_4expt15ForallParamPackIJEEES6_SA_TnNSt9enable_ifIXaasr3std10is_base_ofINS5_10DirectBaseET4_EE5valuegtsrT5_10block_sizeLi0EEmE4typeELm256EEEvT1_T0_T2_T3_,"axG",@progbits,_ZN4RAJA6policy3hip4impl18forallp_hip_kernelINS1_8hip_execINS_17iteration_mapping6DirectENS_3hip11IndexGlobalILNS_9named_dimE0ELi256ELi0EEENS7_40AvoidDeviceMaxThreadOccupancyConcretizerINS7_34FractionOffsetOccupancyConcretizerINS_8FractionImLm1ELm1EEELln1EEEEELb1EEENS_9Iterators16numeric_iteratorIllPlEEZN8rajaperf9algorithm9HISTOGRAM26runHipVariantAtomicRuntimeILl256ELl32ELl4ENSM_11gpu_mapping20global_direct_helperEEEvNSM_9VariantIDEEUllE_lNS_4expt15ForallParamPackIJEEES6_SA_TnNSt9enable_ifIXaasr3std10is_base_ofINS5_10DirectBaseET4_EE5valuegtsrT5_10block_sizeLi0EEmE4typeELm256EEEvT1_T0_T2_T3_,comdat
	.protected	_ZN4RAJA6policy3hip4impl18forallp_hip_kernelINS1_8hip_execINS_17iteration_mapping6DirectENS_3hip11IndexGlobalILNS_9named_dimE0ELi256ELi0EEENS7_40AvoidDeviceMaxThreadOccupancyConcretizerINS7_34FractionOffsetOccupancyConcretizerINS_8FractionImLm1ELm1EEELln1EEEEELb1EEENS_9Iterators16numeric_iteratorIllPlEEZN8rajaperf9algorithm9HISTOGRAM26runHipVariantAtomicRuntimeILl256ELl32ELl4ENSM_11gpu_mapping20global_direct_helperEEEvNSM_9VariantIDEEUllE_lNS_4expt15ForallParamPackIJEEES6_SA_TnNSt9enable_ifIXaasr3std10is_base_ofINS5_10DirectBaseET4_EE5valuegtsrT5_10block_sizeLi0EEmE4typeELm256EEEvT1_T0_T2_T3_ ; -- Begin function _ZN4RAJA6policy3hip4impl18forallp_hip_kernelINS1_8hip_execINS_17iteration_mapping6DirectENS_3hip11IndexGlobalILNS_9named_dimE0ELi256ELi0EEENS7_40AvoidDeviceMaxThreadOccupancyConcretizerINS7_34FractionOffsetOccupancyConcretizerINS_8FractionImLm1ELm1EEELln1EEEEELb1EEENS_9Iterators16numeric_iteratorIllPlEEZN8rajaperf9algorithm9HISTOGRAM26runHipVariantAtomicRuntimeILl256ELl32ELl4ENSM_11gpu_mapping20global_direct_helperEEEvNSM_9VariantIDEEUllE_lNS_4expt15ForallParamPackIJEEES6_SA_TnNSt9enable_ifIXaasr3std10is_base_ofINS5_10DirectBaseET4_EE5valuegtsrT5_10block_sizeLi0EEmE4typeELm256EEEvT1_T0_T2_T3_
	.globl	_ZN4RAJA6policy3hip4impl18forallp_hip_kernelINS1_8hip_execINS_17iteration_mapping6DirectENS_3hip11IndexGlobalILNS_9named_dimE0ELi256ELi0EEENS7_40AvoidDeviceMaxThreadOccupancyConcretizerINS7_34FractionOffsetOccupancyConcretizerINS_8FractionImLm1ELm1EEELln1EEEEELb1EEENS_9Iterators16numeric_iteratorIllPlEEZN8rajaperf9algorithm9HISTOGRAM26runHipVariantAtomicRuntimeILl256ELl32ELl4ENSM_11gpu_mapping20global_direct_helperEEEvNSM_9VariantIDEEUllE_lNS_4expt15ForallParamPackIJEEES6_SA_TnNSt9enable_ifIXaasr3std10is_base_ofINS5_10DirectBaseET4_EE5valuegtsrT5_10block_sizeLi0EEmE4typeELm256EEEvT1_T0_T2_T3_
	.p2align	8
	.type	_ZN4RAJA6policy3hip4impl18forallp_hip_kernelINS1_8hip_execINS_17iteration_mapping6DirectENS_3hip11IndexGlobalILNS_9named_dimE0ELi256ELi0EEENS7_40AvoidDeviceMaxThreadOccupancyConcretizerINS7_34FractionOffsetOccupancyConcretizerINS_8FractionImLm1ELm1EEELln1EEEEELb1EEENS_9Iterators16numeric_iteratorIllPlEEZN8rajaperf9algorithm9HISTOGRAM26runHipVariantAtomicRuntimeILl256ELl32ELl4ENSM_11gpu_mapping20global_direct_helperEEEvNSM_9VariantIDEEUllE_lNS_4expt15ForallParamPackIJEEES6_SA_TnNSt9enable_ifIXaasr3std10is_base_ofINS5_10DirectBaseET4_EE5valuegtsrT5_10block_sizeLi0EEmE4typeELm256EEEvT1_T0_T2_T3_,@function
_ZN4RAJA6policy3hip4impl18forallp_hip_kernelINS1_8hip_execINS_17iteration_mapping6DirectENS_3hip11IndexGlobalILNS_9named_dimE0ELi256ELi0EEENS7_40AvoidDeviceMaxThreadOccupancyConcretizerINS7_34FractionOffsetOccupancyConcretizerINS_8FractionImLm1ELm1EEELln1EEEEELb1EEENS_9Iterators16numeric_iteratorIllPlEEZN8rajaperf9algorithm9HISTOGRAM26runHipVariantAtomicRuntimeILl256ELl32ELl4ENSM_11gpu_mapping20global_direct_helperEEEvNSM_9VariantIDEEUllE_lNS_4expt15ForallParamPackIJEEES6_SA_TnNSt9enable_ifIXaasr3std10is_base_ofINS5_10DirectBaseET4_EE5valuegtsrT5_10block_sizeLi0EEmE4typeELm256EEEvT1_T0_T2_T3_: ; @_ZN4RAJA6policy3hip4impl18forallp_hip_kernelINS1_8hip_execINS_17iteration_mapping6DirectENS_3hip11IndexGlobalILNS_9named_dimE0ELi256ELi0EEENS7_40AvoidDeviceMaxThreadOccupancyConcretizerINS7_34FractionOffsetOccupancyConcretizerINS_8FractionImLm1ELm1EEELln1EEEEELb1EEENS_9Iterators16numeric_iteratorIllPlEEZN8rajaperf9algorithm9HISTOGRAM26runHipVariantAtomicRuntimeILl256ELl32ELl4ENSM_11gpu_mapping20global_direct_helperEEEvNSM_9VariantIDEEUllE_lNS_4expt15ForallParamPackIJEEES6_SA_TnNSt9enable_ifIXaasr3std10is_base_ofINS5_10DirectBaseET4_EE5valuegtsrT5_10block_sizeLi0EEmE4typeELm256EEEvT1_T0_T2_T3_
; %bb.0:
	s_clause 0x4
	s_load_b64 s[22:23], s[0:1], 0x0
	s_load_b64 s[2:3], s[0:1], 0x50
	s_load_b256 s[4:11], s[0:1], 0x10
	s_load_b128 s[16:19], s[0:1], 0x40
	s_load_b32 s20, s[0:1], 0x30
	s_mov_b32 s12, s13
	s_waitcnt lgkmcnt(0)
	s_cmp_eq_u64 s[22:23], 0
	s_cselect_b32 s21, -1, 0
	s_cmp_lg_u64 s[22:23], 0
	s_cbranch_scc1 .LBB4_6
; %bb.1:
	s_cmp_eq_u32 s11, 0x7ffffffe
	s_cselect_b32 s13, -1, 0
	s_cmp_eq_u32 0, -1
	s_cselect_b32 s22, -1, 0
	s_delay_alu instid0(SALU_CYCLE_1) | instskip(NEXT) | instid1(SALU_CYCLE_1)
	s_or_b32 s13, s22, s13
	s_and_b32 vcc_lo, exec_lo, s13
	s_cbranch_vccnz .LBB4_6
; %bb.2:
	s_load_b32 s13, s[0:1], 0x6c
	v_bfe_u32 v1, v0, 20, 10
	v_bfe_u32 v2, v0, 10, 10
	v_and_b32_e32 v3, 0x3ff, v0
	s_mov_b32 s22, exec_lo
	s_waitcnt lgkmcnt(0)
	s_lshr_b32 s23, s13, 16
	s_and_b32 s13, s13, 0xffff
	s_delay_alu instid0(SALU_CYCLE_1) | instskip(SKIP_3) | instid1(VALU_DEP_1)
	s_mul_i32 s23, s23, s13
	v_mul_u32_u24_e32 v2, s13, v2
	v_mul_lo_u32 v1, s23, v1
	s_mul_i32 s13, s20, s8
	v_add3_u32 v3, v2, v3, v1
	s_delay_alu instid0(VALU_DEP_1)
	v_cmpx_gt_i32_e64 s13, v3
	s_cbranch_execz .LBB4_5
; %bb.3:
	s_load_b32 s24, s[0:1], 0x70
	v_lshlrev_b32_e32 v1, 3, v3
	s_delay_alu instid0(VALU_DEP_1) | instskip(SKIP_3) | instid1(SALU_CYCLE_1)
	v_add3_u32 v4, 0, s11, v1
	v_dual_mov_b32 v1, s6 :: v_dual_mov_b32 v2, s7
	s_waitcnt lgkmcnt(0)
	s_and_b32 s24, s24, 0xffff
	s_and_b32 s24, s24, 0xffff
	s_delay_alu instid0(SALU_CYCLE_1)
	s_mul_i32 s23, s23, s24
	s_mov_b32 s24, 0
	s_lshl_b32 s25, s23, 3
.LBB4_4:                                ; =>This Inner Loop Header: Depth=1
	v_add_nc_u32_e32 v3, s23, v3
	ds_store_b64 v4, v[1:2]
	v_add_nc_u32_e32 v4, s25, v4
	v_cmp_le_i32_e32 vcc_lo, s13, v3
	s_or_b32 s24, vcc_lo, s24
	s_delay_alu instid0(SALU_CYCLE_1)
	s_and_not1_b32 exec_lo, exec_lo, s24
	s_cbranch_execnz .LBB4_4
.LBB4_5:
	s_or_b32 exec_lo, exec_lo, s22
	s_waitcnt lgkmcnt(0)
	s_barrier
	buffer_gl0_inv
.LBB4_6:
	v_and_b32_e32 v1, 0x3ff, v0
	s_mov_b32 s13, 0
	s_delay_alu instid0(SALU_CYCLE_1) | instskip(NEXT) | instid1(SALU_CYCLE_1)
	s_lshl_b64 s[22:23], s[12:13], 8
	v_mov_b32_e32 v3, s23
	s_delay_alu instid0(VALU_DEP_2) | instskip(NEXT) | instid1(VALU_DEP_1)
	v_or_b32_e32 v2, s22, v1
	v_cmp_gt_i64_e32 vcc_lo, s[2:3], v[2:3]
	s_and_saveexec_b32 s3, vcc_lo
	s_cbranch_execz .LBB4_14
; %bb.7:
	v_lshlrev_b64 v[2:3], 3, v[2:3]
	s_lshl_b64 s[18:19], s[18:19], 3
	s_delay_alu instid0(SALU_CYCLE_1) | instskip(SKIP_2) | instid1(VALU_DEP_1)
	s_add_u32 s2, s18, s16
	s_addc_u32 s13, s19, s17
	s_cmp_eq_u32 s11, 0x7ffffffe
	v_add_co_u32 v2, vcc_lo, s2, v2
	v_add_co_ci_u32_e32 v3, vcc_lo, s13, v3, vcc_lo
	s_cselect_b32 s2, -1, 0
	s_cmp_eq_u32 0, -1
	s_mov_b32 s16, -1
	global_load_b32 v2, v[2:3], off
	s_cselect_b32 s13, -1, 0
	s_delay_alu instid0(SALU_CYCLE_1) | instskip(SKIP_4) | instid1(VALU_DEP_1)
	s_or_b32 s2, s13, s2
	s_cmp_lg_u64 s[6:7], 1
	s_cselect_b32 s13, -1, 0
	s_and_b32 vcc_lo, exec_lo, s2
	v_cndmask_b32_e64 v3, 0, 1, s13
	v_cmp_ne_u32_e64 s2, 1, v3
	s_cbranch_vccnz .LBB4_11
; %bb.8:
	s_delay_alu instid0(VALU_DEP_1)
	s_and_b32 vcc_lo, exec_lo, s2
	s_cbranch_vccnz .LBB4_10
; %bb.9:
	s_load_b32 s2, s[0:1], 0x6c
	v_bfe_u32 v3, v0, 10, 10
	v_bfe_u32 v4, v0, 20, 10
	s_waitcnt lgkmcnt(0)
	s_lshr_b32 s16, s2, 16
	s_and_b32 s2, s2, 0xffff
	s_delay_alu instid0(VALU_DEP_1) | instskip(SKIP_1) | instid1(VALU_DEP_1)
	v_mad_u32_u24 v5, v4, s16, v3
	s_waitcnt vmcnt(0)
	v_mad_u64_u32 v[3:4], null, v5, s2, v[1:2]
	v_mul_lo_u32 v4, s20, v2
	s_add_i32 s2, s20, -1
	s_delay_alu instid0(VALU_DEP_2) | instid1(SALU_CYCLE_1)
	v_and_b32_e32 v3, s2, v3
	s_add_i32 s2, s11, 0
	s_delay_alu instid0(VALU_DEP_2) | instskip(NEXT) | instid1(VALU_DEP_2)
	v_lshlrev_b32_e32 v6, 3, v4
	v_lshlrev_b32_e32 v5, 3, v3
	v_mov_b32_e32 v3, 1
	v_mov_b32_e32 v4, 0
	s_delay_alu instid0(VALU_DEP_3)
	v_add3_u32 v5, s2, v5, v6
	ds_add_u64 v5, v[3:4]
.LBB4_10:
	s_mov_b32 s16, 0
.LBB4_11:
	s_delay_alu instid0(SALU_CYCLE_1)
	s_and_not1_b32 vcc_lo, exec_lo, s16
	s_cbranch_vccnz .LBB4_14
; %bb.12:
	s_and_not1_b32 vcc_lo, exec_lo, s13
	s_cbranch_vccnz .LBB4_14
; %bb.13:
	s_load_b64 s[16:17], s[0:1], 0x60
	v_mov_b32_e32 v3, 0
	s_add_u32 s2, s0, 0x60
	s_addc_u32 s13, s1, 0
	v_bfe_u32 v7, v0, 10, 10
	v_bfe_u32 v8, v0, 20, 10
	global_load_b32 v4, v3, s[0:1] offset:110
	s_waitcnt lgkmcnt(0)
	s_cmp_lt_u32 s12, s16
	s_cselect_b32 s18, 12, 18
	s_delay_alu instid0(SALU_CYCLE_1) | instskip(SKIP_4) | instid1(SALU_CYCLE_1)
	s_add_u32 s18, s2, s18
	s_addc_u32 s19, s13, 0
	s_mul_i32 s2, s17, s15
	global_load_u16 v5, v3, s[18:19]
	s_add_i32 s2, s2, s14
	s_mul_i32 s2, s2, s16
	s_delay_alu instid0(SALU_CYCLE_1) | instskip(SKIP_3) | instid1(VALU_DEP_2)
	s_add_i32 s2, s2, s12
	s_waitcnt vmcnt(1)
	v_and_b32_e32 v3, 0xffff, v4
	v_lshrrev_b32_e32 v4, 16, v4
	v_mad_u32_u24 v7, v8, v3, v7
	s_waitcnt vmcnt(0)
	v_mul_lo_u32 v6, v3, v5
	s_delay_alu instid0(VALU_DEP_1) | instskip(NEXT) | instid1(VALU_DEP_3)
	v_mul_lo_u32 v6, v6, v4
	v_mad_u64_u32 v[3:4], null, v7, v5, v[1:2]
	s_delay_alu instid0(VALU_DEP_2) | instskip(NEXT) | instid1(VALU_DEP_2)
	v_add_nc_u32_e32 v4, 63, v6
	v_lshrrev_b32_e32 v3, 6, v3
	s_delay_alu instid0(VALU_DEP_2) | instskip(NEXT) | instid1(VALU_DEP_1)
	v_lshrrev_b32_e32 v6, 6, v4
	v_mad_u64_u32 v[4:5], null, v6, s2, v[3:4]
	s_add_i32 s2, s10, -1
	s_delay_alu instid0(VALU_DEP_1) | instid1(SALU_CYCLE_1)
	v_and_b32_e32 v5, s2, v4
	s_delay_alu instid0(VALU_DEP_1) | instskip(NEXT) | instid1(VALU_DEP_1)
	v_mad_u64_u32 v[3:4], null, v5, s9, v[2:3]
	v_ashrrev_i32_e32 v4, 31, v3
	s_delay_alu instid0(VALU_DEP_1) | instskip(SKIP_2) | instid1(VALU_DEP_3)
	v_lshlrev_b64 v[2:3], 3, v[3:4]
	v_mov_b32_e32 v4, 1
	v_mov_b32_e32 v5, 0
	v_add_co_u32 v2, vcc_lo, s4, v2
	s_delay_alu instid0(VALU_DEP_4)
	v_add_co_ci_u32_e32 v3, vcc_lo, s5, v3, vcc_lo
	global_atomic_add_u64 v[2:3], v[4:5], off
.LBB4_14:
	s_or_b32 exec_lo, exec_lo, s3
	s_delay_alu instid0(SALU_CYCLE_1)
	s_and_not1_b32 vcc_lo, exec_lo, s21
	s_cbranch_vccnz .LBB4_24
; %bb.15:
	s_cmp_eq_u32 s11, 0x7ffffffe
	s_cselect_b32 s2, -1, 0
	s_cmp_eq_u32 0, -1
	s_cselect_b32 s3, -1, 0
	s_delay_alu instid0(SALU_CYCLE_1) | instskip(NEXT) | instid1(SALU_CYCLE_1)
	s_or_b32 s2, s3, s2
	s_and_b32 vcc_lo, exec_lo, s2
	s_cbranch_vccnz .LBB4_24
; %bb.16:
	s_load_b64 s[2:3], s[0:1], 0x60
	s_waitcnt vmcnt(0)
	v_mov_b32_e32 v2, 0
	s_add_u32 s13, s0, 0x60
	s_addc_u32 s16, s1, 0
	global_load_b32 v4, v2, s[0:1] offset:110
	s_waitcnt lgkmcnt(0)
	s_cmp_lt_u32 s12, s2
	s_cselect_b32 s0, 12, 18
	s_delay_alu instid0(SALU_CYCLE_1)
	s_add_u32 s0, s13, s0
	s_addc_u32 s1, s16, 0
	global_load_u16 v5, v2, s[0:1]
	v_bfe_u32 v2, v0, 20, 10
	v_bfe_u32 v0, v0, 10, 10
	s_waitcnt vmcnt(0)
	s_waitcnt_vscnt null, 0x0
	s_barrier
	buffer_gl0_inv
	s_mov_b32 s0, exec_lo
	v_and_b32_e32 v6, 0xffff, v4
	s_delay_alu instid0(VALU_DEP_1) | instskip(SKIP_1) | instid1(VALU_DEP_2)
	v_mul_lo_u32 v3, v6, v5
	v_mul_u32_u24_e32 v0, v0, v5
	v_mul_lo_u32 v2, v3, v2
	s_delay_alu instid0(VALU_DEP_1) | instskip(NEXT) | instid1(VALU_DEP_1)
	v_add3_u32 v2, v0, v1, v2
	v_cmpx_gt_i32_e64 s8, v2
	s_cbranch_execz .LBB4_24
; %bb.17:
	v_mul_lo_u32 v0, s20, v5
	v_lshrrev_b32_e32 v1, 16, v4
	v_mul_lo_u32 v4, s20, v2
	s_mul_i32 s0, s3, s15
	s_delay_alu instid0(SALU_CYCLE_1) | instskip(NEXT) | instid1(VALU_DEP_2)
	s_add_i32 s0, s0, s14
	v_mul_lo_u32 v3, v3, v1
	s_mul_i32 s0, s0, s2
	s_delay_alu instid0(VALU_DEP_4) | instskip(SKIP_1) | instid1(VALU_DEP_3)
	v_mul_lo_u32 v0, v0, v6
	s_add_i32 s1, s0, s12
	v_lshlrev_b32_e32 v4, 3, v4
	s_cmp_gt_i32 s20, 0
	s_cselect_b32 s0, -1, 0
	s_add_i32 s2, s10, -1
	s_delay_alu instid0(VALU_DEP_1) | instskip(NEXT) | instid1(VALU_DEP_3)
	v_add3_u32 v4, 0, s11, v4
	v_mul_lo_u32 v0, v0, v1
	s_and_b32 s2, s1, s2
	s_mov_b32 s1, 0
	s_mul_i32 s2, s2, s9
	s_delay_alu instid0(VALU_DEP_1)
	v_lshlrev_b32_e32 v5, 3, v0
	s_set_inst_prefetch_distance 0x1
	s_branch .LBB4_19
	.p2align	6
.LBB4_18:                               ;   in Loop: Header=BB4_19 Depth=1
	s_or_b32 exec_lo, exec_lo, s3
	v_add_nc_u32_e32 v2, v2, v3
	v_add_nc_u32_e32 v4, v4, v5
	s_delay_alu instid0(VALU_DEP_2) | instskip(SKIP_1) | instid1(SALU_CYCLE_1)
	v_cmp_le_i32_e32 vcc_lo, s8, v2
	s_or_b32 s1, vcc_lo, s1
	s_and_not1_b32 exec_lo, exec_lo, s1
	s_cbranch_execz .LBB4_24
.LBB4_19:                               ; =>This Loop Header: Depth=1
                                        ;     Child Loop BB4_21 Depth 2
	v_dual_mov_b32 v0, s6 :: v_dual_mov_b32 v1, s7
	s_and_not1_b32 vcc_lo, exec_lo, s0
	s_cbranch_vccnz .LBB4_22
; %bb.20:                               ;   in Loop: Header=BB4_19 Depth=1
	v_dual_mov_b32 v0, s6 :: v_dual_mov_b32 v1, s7
	v_mov_b32_e32 v6, v4
	s_mov_b32 s3, s20
.LBB4_21:                               ;   Parent Loop BB4_19 Depth=1
                                        ; =>  This Inner Loop Header: Depth=2
	ds_load_b64 v[7:8], v6
	v_add_nc_u32_e32 v6, 8, v6
	s_add_i32 s3, s3, -1
	s_delay_alu instid0(SALU_CYCLE_1)
	s_cmp_eq_u32 s3, 0
	s_waitcnt lgkmcnt(0)
	v_add_co_u32 v0, vcc_lo, v7, v0
	v_add_co_ci_u32_e32 v1, vcc_lo, v8, v1, vcc_lo
	s_cbranch_scc0 .LBB4_21
.LBB4_22:                               ;   in Loop: Header=BB4_19 Depth=1
	s_mov_b32 s3, exec_lo
	s_delay_alu instid0(VALU_DEP_1)
	v_cmpx_ne_u64_e64 s[6:7], v[0:1]
	s_cbranch_execz .LBB4_18
; %bb.23:                               ;   in Loop: Header=BB4_19 Depth=1
	v_add_nc_u32_e32 v6, s2, v2
	s_delay_alu instid0(VALU_DEP_1) | instskip(NEXT) | instid1(VALU_DEP_1)
	v_ashrrev_i32_e32 v7, 31, v6
	v_lshlrev_b64 v[6:7], 3, v[6:7]
	s_delay_alu instid0(VALU_DEP_1) | instskip(NEXT) | instid1(VALU_DEP_2)
	v_add_co_u32 v6, vcc_lo, s4, v6
	v_add_co_ci_u32_e32 v7, vcc_lo, s5, v7, vcc_lo
	global_atomic_add_u64 v[6:7], v[0:1], off
	s_branch .LBB4_18
.LBB4_24:
	s_set_inst_prefetch_distance 0x2
	s_nop 0
	s_sendmsg sendmsg(MSG_DEALLOC_VGPRS)
	s_endpgm
	.section	.rodata,"a",@progbits
	.p2align	6, 0x0
	.amdhsa_kernel _ZN4RAJA6policy3hip4impl18forallp_hip_kernelINS1_8hip_execINS_17iteration_mapping6DirectENS_3hip11IndexGlobalILNS_9named_dimE0ELi256ELi0EEENS7_40AvoidDeviceMaxThreadOccupancyConcretizerINS7_34FractionOffsetOccupancyConcretizerINS_8FractionImLm1ELm1EEELln1EEEEELb1EEENS_9Iterators16numeric_iteratorIllPlEEZN8rajaperf9algorithm9HISTOGRAM26runHipVariantAtomicRuntimeILl256ELl32ELl4ENSM_11gpu_mapping20global_direct_helperEEEvNSM_9VariantIDEEUllE_lNS_4expt15ForallParamPackIJEEES6_SA_TnNSt9enable_ifIXaasr3std10is_base_ofINS5_10DirectBaseET4_EE5valuegtsrT5_10block_sizeLi0EEmE4typeELm256EEEvT1_T0_T2_T3_
		.amdhsa_group_segment_fixed_size 0
		.amdhsa_private_segment_fixed_size 0
		.amdhsa_kernarg_size 352
		.amdhsa_user_sgpr_count 13
		.amdhsa_user_sgpr_dispatch_ptr 0
		.amdhsa_user_sgpr_queue_ptr 0
		.amdhsa_user_sgpr_kernarg_segment_ptr 1
		.amdhsa_user_sgpr_dispatch_id 0
		.amdhsa_user_sgpr_private_segment_size 0
		.amdhsa_wavefront_size32 1
		.amdhsa_uses_dynamic_stack 0
		.amdhsa_enable_private_segment 0
		.amdhsa_system_sgpr_workgroup_id_x 1
		.amdhsa_system_sgpr_workgroup_id_y 1
		.amdhsa_system_sgpr_workgroup_id_z 1
		.amdhsa_system_sgpr_workgroup_info 0
		.amdhsa_system_vgpr_workitem_id 2
		.amdhsa_next_free_vgpr 9
		.amdhsa_next_free_sgpr 26
		.amdhsa_reserve_vcc 1
		.amdhsa_float_round_mode_32 0
		.amdhsa_float_round_mode_16_64 0
		.amdhsa_float_denorm_mode_32 3
		.amdhsa_float_denorm_mode_16_64 3
		.amdhsa_dx10_clamp 1
		.amdhsa_ieee_mode 1
		.amdhsa_fp16_overflow 0
		.amdhsa_workgroup_processor_mode 1
		.amdhsa_memory_ordered 1
		.amdhsa_forward_progress 0
		.amdhsa_shared_vgpr_count 0
		.amdhsa_exception_fp_ieee_invalid_op 0
		.amdhsa_exception_fp_denorm_src 0
		.amdhsa_exception_fp_ieee_div_zero 0
		.amdhsa_exception_fp_ieee_overflow 0
		.amdhsa_exception_fp_ieee_underflow 0
		.amdhsa_exception_fp_ieee_inexact 0
		.amdhsa_exception_int_div_zero 0
	.end_amdhsa_kernel
	.section	.text._ZN4RAJA6policy3hip4impl18forallp_hip_kernelINS1_8hip_execINS_17iteration_mapping6DirectENS_3hip11IndexGlobalILNS_9named_dimE0ELi256ELi0EEENS7_40AvoidDeviceMaxThreadOccupancyConcretizerINS7_34FractionOffsetOccupancyConcretizerINS_8FractionImLm1ELm1EEELln1EEEEELb1EEENS_9Iterators16numeric_iteratorIllPlEEZN8rajaperf9algorithm9HISTOGRAM26runHipVariantAtomicRuntimeILl256ELl32ELl4ENSM_11gpu_mapping20global_direct_helperEEEvNSM_9VariantIDEEUllE_lNS_4expt15ForallParamPackIJEEES6_SA_TnNSt9enable_ifIXaasr3std10is_base_ofINS5_10DirectBaseET4_EE5valuegtsrT5_10block_sizeLi0EEmE4typeELm256EEEvT1_T0_T2_T3_,"axG",@progbits,_ZN4RAJA6policy3hip4impl18forallp_hip_kernelINS1_8hip_execINS_17iteration_mapping6DirectENS_3hip11IndexGlobalILNS_9named_dimE0ELi256ELi0EEENS7_40AvoidDeviceMaxThreadOccupancyConcretizerINS7_34FractionOffsetOccupancyConcretizerINS_8FractionImLm1ELm1EEELln1EEEEELb1EEENS_9Iterators16numeric_iteratorIllPlEEZN8rajaperf9algorithm9HISTOGRAM26runHipVariantAtomicRuntimeILl256ELl32ELl4ENSM_11gpu_mapping20global_direct_helperEEEvNSM_9VariantIDEEUllE_lNS_4expt15ForallParamPackIJEEES6_SA_TnNSt9enable_ifIXaasr3std10is_base_ofINS5_10DirectBaseET4_EE5valuegtsrT5_10block_sizeLi0EEmE4typeELm256EEEvT1_T0_T2_T3_,comdat
.Lfunc_end4:
	.size	_ZN4RAJA6policy3hip4impl18forallp_hip_kernelINS1_8hip_execINS_17iteration_mapping6DirectENS_3hip11IndexGlobalILNS_9named_dimE0ELi256ELi0EEENS7_40AvoidDeviceMaxThreadOccupancyConcretizerINS7_34FractionOffsetOccupancyConcretizerINS_8FractionImLm1ELm1EEELln1EEEEELb1EEENS_9Iterators16numeric_iteratorIllPlEEZN8rajaperf9algorithm9HISTOGRAM26runHipVariantAtomicRuntimeILl256ELl32ELl4ENSM_11gpu_mapping20global_direct_helperEEEvNSM_9VariantIDEEUllE_lNS_4expt15ForallParamPackIJEEES6_SA_TnNSt9enable_ifIXaasr3std10is_base_ofINS5_10DirectBaseET4_EE5valuegtsrT5_10block_sizeLi0EEmE4typeELm256EEEvT1_T0_T2_T3_, .Lfunc_end4-_ZN4RAJA6policy3hip4impl18forallp_hip_kernelINS1_8hip_execINS_17iteration_mapping6DirectENS_3hip11IndexGlobalILNS_9named_dimE0ELi256ELi0EEENS7_40AvoidDeviceMaxThreadOccupancyConcretizerINS7_34FractionOffsetOccupancyConcretizerINS_8FractionImLm1ELm1EEELln1EEEEELb1EEENS_9Iterators16numeric_iteratorIllPlEEZN8rajaperf9algorithm9HISTOGRAM26runHipVariantAtomicRuntimeILl256ELl32ELl4ENSM_11gpu_mapping20global_direct_helperEEEvNSM_9VariantIDEEUllE_lNS_4expt15ForallParamPackIJEEES6_SA_TnNSt9enable_ifIXaasr3std10is_base_ofINS5_10DirectBaseET4_EE5valuegtsrT5_10block_sizeLi0EEmE4typeELm256EEEvT1_T0_T2_T3_
                                        ; -- End function
	.section	.AMDGPU.csdata,"",@progbits
; Kernel info:
; codeLenInByte = 1432
; NumSgprs: 28
; NumVgprs: 9
; ScratchSize: 0
; MemoryBound: 0
; FloatMode: 240
; IeeeMode: 1
; LDSByteSize: 0 bytes/workgroup (compile time only)
; SGPRBlocks: 3
; VGPRBlocks: 1
; NumSGPRsForWavesPerEU: 28
; NumVGPRsForWavesPerEU: 9
; Occupancy: 16
; WaveLimiterHint : 1
; COMPUTE_PGM_RSRC2:SCRATCH_EN: 0
; COMPUTE_PGM_RSRC2:USER_SGPR: 13
; COMPUTE_PGM_RSRC2:TRAP_HANDLER: 0
; COMPUTE_PGM_RSRC2:TGID_X_EN: 1
; COMPUTE_PGM_RSRC2:TGID_Y_EN: 1
; COMPUTE_PGM_RSRC2:TGID_Z_EN: 1
; COMPUTE_PGM_RSRC2:TIDIG_COMP_CNT: 2
	.section	.text._ZN4RAJA6policy3hip4impl18forallp_hip_kernelINS1_8hip_execINS_17iteration_mapping11StridedLoopILm0EEENS_3hip11IndexGlobalILNS_9named_dimE0ELi256ELi0EEENS8_40AvoidDeviceMaxThreadOccupancyConcretizerINS8_34FractionOffsetOccupancyConcretizerINS_8FractionImLm1ELm1EEELln1EEEEELb1EEENS_9Iterators16numeric_iteratorIllPlEEZN8rajaperf9algorithm9HISTOGRAM26runHipVariantAtomicRuntimeILl256ELl32ELl4ENSN_11gpu_mapping40global_loop_occupancy_grid_stride_helperEEEvNSN_9VariantIDEEUllE_lNS_4expt15ForallParamPackIJEEES7_SB_TnNSt9enable_ifIXaaaasr3std10is_base_ofINS5_15StridedLoopBaseET4_EE5valuesr3std10is_base_ofINS5_15UnsizedLoopBaseES10_EE5valuegtsrT5_10block_sizeLi0EEmE4typeELm256EEEvT1_T0_T2_T3_,"axG",@progbits,_ZN4RAJA6policy3hip4impl18forallp_hip_kernelINS1_8hip_execINS_17iteration_mapping11StridedLoopILm0EEENS_3hip11IndexGlobalILNS_9named_dimE0ELi256ELi0EEENS8_40AvoidDeviceMaxThreadOccupancyConcretizerINS8_34FractionOffsetOccupancyConcretizerINS_8FractionImLm1ELm1EEELln1EEEEELb1EEENS_9Iterators16numeric_iteratorIllPlEEZN8rajaperf9algorithm9HISTOGRAM26runHipVariantAtomicRuntimeILl256ELl32ELl4ENSN_11gpu_mapping40global_loop_occupancy_grid_stride_helperEEEvNSN_9VariantIDEEUllE_lNS_4expt15ForallParamPackIJEEES7_SB_TnNSt9enable_ifIXaaaasr3std10is_base_ofINS5_15StridedLoopBaseET4_EE5valuesr3std10is_base_ofINS5_15UnsizedLoopBaseES10_EE5valuegtsrT5_10block_sizeLi0EEmE4typeELm256EEEvT1_T0_T2_T3_,comdat
	.protected	_ZN4RAJA6policy3hip4impl18forallp_hip_kernelINS1_8hip_execINS_17iteration_mapping11StridedLoopILm0EEENS_3hip11IndexGlobalILNS_9named_dimE0ELi256ELi0EEENS8_40AvoidDeviceMaxThreadOccupancyConcretizerINS8_34FractionOffsetOccupancyConcretizerINS_8FractionImLm1ELm1EEELln1EEEEELb1EEENS_9Iterators16numeric_iteratorIllPlEEZN8rajaperf9algorithm9HISTOGRAM26runHipVariantAtomicRuntimeILl256ELl32ELl4ENSN_11gpu_mapping40global_loop_occupancy_grid_stride_helperEEEvNSN_9VariantIDEEUllE_lNS_4expt15ForallParamPackIJEEES7_SB_TnNSt9enable_ifIXaaaasr3std10is_base_ofINS5_15StridedLoopBaseET4_EE5valuesr3std10is_base_ofINS5_15UnsizedLoopBaseES10_EE5valuegtsrT5_10block_sizeLi0EEmE4typeELm256EEEvT1_T0_T2_T3_ ; -- Begin function _ZN4RAJA6policy3hip4impl18forallp_hip_kernelINS1_8hip_execINS_17iteration_mapping11StridedLoopILm0EEENS_3hip11IndexGlobalILNS_9named_dimE0ELi256ELi0EEENS8_40AvoidDeviceMaxThreadOccupancyConcretizerINS8_34FractionOffsetOccupancyConcretizerINS_8FractionImLm1ELm1EEELln1EEEEELb1EEENS_9Iterators16numeric_iteratorIllPlEEZN8rajaperf9algorithm9HISTOGRAM26runHipVariantAtomicRuntimeILl256ELl32ELl4ENSN_11gpu_mapping40global_loop_occupancy_grid_stride_helperEEEvNSN_9VariantIDEEUllE_lNS_4expt15ForallParamPackIJEEES7_SB_TnNSt9enable_ifIXaaaasr3std10is_base_ofINS5_15StridedLoopBaseET4_EE5valuesr3std10is_base_ofINS5_15UnsizedLoopBaseES10_EE5valuegtsrT5_10block_sizeLi0EEmE4typeELm256EEEvT1_T0_T2_T3_
	.globl	_ZN4RAJA6policy3hip4impl18forallp_hip_kernelINS1_8hip_execINS_17iteration_mapping11StridedLoopILm0EEENS_3hip11IndexGlobalILNS_9named_dimE0ELi256ELi0EEENS8_40AvoidDeviceMaxThreadOccupancyConcretizerINS8_34FractionOffsetOccupancyConcretizerINS_8FractionImLm1ELm1EEELln1EEEEELb1EEENS_9Iterators16numeric_iteratorIllPlEEZN8rajaperf9algorithm9HISTOGRAM26runHipVariantAtomicRuntimeILl256ELl32ELl4ENSN_11gpu_mapping40global_loop_occupancy_grid_stride_helperEEEvNSN_9VariantIDEEUllE_lNS_4expt15ForallParamPackIJEEES7_SB_TnNSt9enable_ifIXaaaasr3std10is_base_ofINS5_15StridedLoopBaseET4_EE5valuesr3std10is_base_ofINS5_15UnsizedLoopBaseES10_EE5valuegtsrT5_10block_sizeLi0EEmE4typeELm256EEEvT1_T0_T2_T3_
	.p2align	8
	.type	_ZN4RAJA6policy3hip4impl18forallp_hip_kernelINS1_8hip_execINS_17iteration_mapping11StridedLoopILm0EEENS_3hip11IndexGlobalILNS_9named_dimE0ELi256ELi0EEENS8_40AvoidDeviceMaxThreadOccupancyConcretizerINS8_34FractionOffsetOccupancyConcretizerINS_8FractionImLm1ELm1EEELln1EEEEELb1EEENS_9Iterators16numeric_iteratorIllPlEEZN8rajaperf9algorithm9HISTOGRAM26runHipVariantAtomicRuntimeILl256ELl32ELl4ENSN_11gpu_mapping40global_loop_occupancy_grid_stride_helperEEEvNSN_9VariantIDEEUllE_lNS_4expt15ForallParamPackIJEEES7_SB_TnNSt9enable_ifIXaaaasr3std10is_base_ofINS5_15StridedLoopBaseET4_EE5valuesr3std10is_base_ofINS5_15UnsizedLoopBaseES10_EE5valuegtsrT5_10block_sizeLi0EEmE4typeELm256EEEvT1_T0_T2_T3_,@function
_ZN4RAJA6policy3hip4impl18forallp_hip_kernelINS1_8hip_execINS_17iteration_mapping11StridedLoopILm0EEENS_3hip11IndexGlobalILNS_9named_dimE0ELi256ELi0EEENS8_40AvoidDeviceMaxThreadOccupancyConcretizerINS8_34FractionOffsetOccupancyConcretizerINS_8FractionImLm1ELm1EEELln1EEEEELb1EEENS_9Iterators16numeric_iteratorIllPlEEZN8rajaperf9algorithm9HISTOGRAM26runHipVariantAtomicRuntimeILl256ELl32ELl4ENSN_11gpu_mapping40global_loop_occupancy_grid_stride_helperEEEvNSN_9VariantIDEEUllE_lNS_4expt15ForallParamPackIJEEES7_SB_TnNSt9enable_ifIXaaaasr3std10is_base_ofINS5_15StridedLoopBaseET4_EE5valuesr3std10is_base_ofINS5_15UnsizedLoopBaseES10_EE5valuegtsrT5_10block_sizeLi0EEmE4typeELm256EEEvT1_T0_T2_T3_: ; @_ZN4RAJA6policy3hip4impl18forallp_hip_kernelINS1_8hip_execINS_17iteration_mapping11StridedLoopILm0EEENS_3hip11IndexGlobalILNS_9named_dimE0ELi256ELi0EEENS8_40AvoidDeviceMaxThreadOccupancyConcretizerINS8_34FractionOffsetOccupancyConcretizerINS_8FractionImLm1ELm1EEELln1EEEEELb1EEENS_9Iterators16numeric_iteratorIllPlEEZN8rajaperf9algorithm9HISTOGRAM26runHipVariantAtomicRuntimeILl256ELl32ELl4ENSN_11gpu_mapping40global_loop_occupancy_grid_stride_helperEEEvNSN_9VariantIDEEUllE_lNS_4expt15ForallParamPackIJEEES7_SB_TnNSt9enable_ifIXaaaasr3std10is_base_ofINS5_15StridedLoopBaseET4_EE5valuesr3std10is_base_ofINS5_15UnsizedLoopBaseES10_EE5valuegtsrT5_10block_sizeLi0EEmE4typeELm256EEEvT1_T0_T2_T3_
; %bb.0:
	s_clause 0x4
	s_load_b64 s[22:23], s[0:1], 0x0
	s_load_b64 s[20:21], s[0:1], 0x50
	s_load_b256 s[4:11], s[0:1], 0x10
	s_load_b128 s[16:19], s[0:1], 0x40
	s_load_b32 s24, s[0:1], 0x30
	s_mov_b32 s12, s13
	s_waitcnt lgkmcnt(0)
	s_cmp_eq_u64 s[22:23], 0
	s_cselect_b32 s3, -1, 0
	s_cmp_lg_u64 s[22:23], 0
	s_cbranch_scc1 .LBB5_6
; %bb.1:
	s_cmp_eq_u32 s11, 0x7ffffffe
	s_cselect_b32 s2, -1, 0
	s_cmp_eq_u32 0, -1
	s_cselect_b32 s13, -1, 0
	s_delay_alu instid0(SALU_CYCLE_1) | instskip(NEXT) | instid1(SALU_CYCLE_1)
	s_or_b32 s2, s13, s2
	s_and_b32 vcc_lo, exec_lo, s2
	s_cbranch_vccnz .LBB5_6
; %bb.2:
	s_load_b32 s2, s[0:1], 0x6c
	v_bfe_u32 v1, v0, 20, 10
	v_bfe_u32 v2, v0, 10, 10
	v_and_b32_e32 v3, 0x3ff, v0
	s_mov_b32 s13, exec_lo
	s_waitcnt lgkmcnt(0)
	s_lshr_b32 s22, s2, 16
	s_and_b32 s2, s2, 0xffff
	s_delay_alu instid0(SALU_CYCLE_1) | instskip(SKIP_3) | instid1(VALU_DEP_1)
	s_mul_i32 s22, s22, s2
	v_mul_u32_u24_e32 v2, s2, v2
	v_mul_lo_u32 v1, s22, v1
	s_mul_i32 s2, s24, s8
	v_add3_u32 v3, v2, v3, v1
	s_delay_alu instid0(VALU_DEP_1)
	v_cmpx_gt_i32_e64 s2, v3
	s_cbranch_execz .LBB5_5
; %bb.3:
	s_load_b32 s23, s[0:1], 0x70
	v_lshlrev_b32_e32 v1, 3, v3
	s_delay_alu instid0(VALU_DEP_1) | instskip(SKIP_3) | instid1(SALU_CYCLE_1)
	v_add3_u32 v4, 0, s11, v1
	v_dual_mov_b32 v1, s6 :: v_dual_mov_b32 v2, s7
	s_waitcnt lgkmcnt(0)
	s_and_b32 s23, s23, 0xffff
	s_and_b32 s23, s23, 0xffff
	s_delay_alu instid0(SALU_CYCLE_1)
	s_mul_i32 s22, s22, s23
	s_mov_b32 s23, 0
	s_lshl_b32 s25, s22, 3
.LBB5_4:                                ; =>This Inner Loop Header: Depth=1
	v_add_nc_u32_e32 v3, s22, v3
	ds_store_b64 v4, v[1:2]
	v_add_nc_u32_e32 v4, s25, v4
	v_cmp_le_i32_e32 vcc_lo, s2, v3
	s_or_b32 s23, vcc_lo, s23
	s_delay_alu instid0(SALU_CYCLE_1)
	s_and_not1_b32 exec_lo, exec_lo, s23
	s_cbranch_execnz .LBB5_4
.LBB5_5:
	s_or_b32 exec_lo, exec_lo, s13
	s_waitcnt lgkmcnt(0)
	s_barrier
	buffer_gl0_inv
.LBB5_6:
	v_and_b32_e32 v1, 0x3ff, v0
	s_mov_b32 s13, 0
	s_mov_b32 s25, exec_lo
	s_lshl_b64 s[22:23], s[12:13], 8
	s_delay_alu instid0(SALU_CYCLE_1) | instskip(SKIP_1) | instid1(VALU_DEP_1)
	v_mov_b32_e32 v3, s23
	v_or_b32_e32 v2, s22, v1
	v_cmpx_gt_i64_e64 s[20:21], v[2:3]
	s_cbranch_execz .LBB5_16
; %bb.7:
	s_load_b32 s34, s[0:1], 0x60
	s_cmp_lg_u32 s11, 0x7ffffffe
	s_mov_b32 s35, s13
	s_cselect_b32 s2, -1, 0
	s_add_i32 s26, s11, 0
	s_cmp_lg_u32 0, -1
	v_dual_mov_b32 v9, 0 :: v_dual_lshlrev_b32 v4, 3, v1
	s_cselect_b32 s22, -1, 0
	v_bfe_u32 v7, v0, 10, 10
	s_and_b32 s27, s22, s2
	s_cmp_lg_u64 s[6:7], 1
	v_bfe_u32 v8, v0, 20, 10
	s_cselect_b32 s28, -1, 0
	s_add_u32 s22, s0, 0x60
	s_addc_u32 s23, s1, 0
	s_lshl_b64 s[36:37], s[12:13], 11
	s_lshl_b64 s[38:39], s[18:19], 3
	s_add_i32 s29, s24, 0x7fffffff
	s_add_i32 s30, s10, -1
	s_waitcnt lgkmcnt(0)
	s_lshl_b64 s[18:19], s[34:35], 8
	s_add_u32 s2, s36, s38
	s_addc_u32 s31, s37, s39
	s_add_u32 s2, s16, s2
	s_addc_u32 s16, s17, s31
	v_add_co_u32 v4, s2, s2, v4
	s_delay_alu instid0(VALU_DEP_1)
	v_add_co_ci_u32_e64 v5, null, s16, 0, s2
	s_lshl_b64 s[16:17], s[34:35], 11
	s_branch .LBB5_9
.LBB5_8:                                ;   in Loop: Header=BB5_9 Depth=1
	v_add_co_u32 v2, vcc_lo, v2, s18
	v_add_co_ci_u32_e32 v3, vcc_lo, s19, v3, vcc_lo
	v_add_co_u32 v4, s2, v4, s16
	s_delay_alu instid0(VALU_DEP_1) | instskip(NEXT) | instid1(VALU_DEP_3)
	v_add_co_ci_u32_e64 v5, s2, s17, v5, s2
	v_cmp_le_i64_e32 vcc_lo, s[20:21], v[2:3]
	s_or_b32 s13, vcc_lo, s13
	s_delay_alu instid0(SALU_CYCLE_1)
	s_and_not1_b32 exec_lo, exec_lo, s13
	s_cbranch_execz .LBB5_16
.LBB5_9:                                ; =>This Inner Loop Header: Depth=1
	global_load_b32 v6, v[4:5], off
	s_and_not1_b32 vcc_lo, exec_lo, s27
	s_mov_b32 s2, -1
	s_cbranch_vccnz .LBB5_13
; %bb.10:                               ;   in Loop: Header=BB5_9 Depth=1
	s_and_not1_b32 vcc_lo, exec_lo, s28
	s_cbranch_vccnz .LBB5_12
; %bb.11:                               ;   in Loop: Header=BB5_9 Depth=1
	s_load_b32 s2, s[22:23], 0xc
	s_waitcnt lgkmcnt(0)
	s_lshr_b32 s31, s2, 16
	s_and_b32 s2, s2, 0xffff
	v_mad_u32_u24 v12, v8, s31, v7
	s_delay_alu instid0(VALU_DEP_1) | instskip(SKIP_2) | instid1(VALU_DEP_2)
	v_mad_u64_u32 v[10:11], null, v12, s2, v[1:2]
	s_waitcnt vmcnt(0)
	v_mul_lo_u32 v11, s24, v6
	v_and_b32_e32 v10, s29, v10
	s_delay_alu instid0(VALU_DEP_2) | instskip(NEXT) | instid1(VALU_DEP_2)
	v_lshlrev_b32_e32 v13, 3, v11
	v_lshlrev_b32_e32 v12, 3, v10
	v_mov_b32_e32 v10, 1
	v_mov_b32_e32 v11, 0
	s_delay_alu instid0(VALU_DEP_3)
	v_add3_u32 v12, s26, v12, v13
	ds_add_u64 v12, v[10:11]
.LBB5_12:                               ;   in Loop: Header=BB5_9 Depth=1
	s_mov_b32 s2, 0
.LBB5_13:                               ;   in Loop: Header=BB5_9 Depth=1
	s_delay_alu instid0(SALU_CYCLE_1)
	s_and_not1_b32 vcc_lo, exec_lo, s2
	s_cbranch_vccnz .LBB5_8
; %bb.14:                               ;   in Loop: Header=BB5_9 Depth=1
	s_and_not1_b32 vcc_lo, exec_lo, s28
	s_cbranch_vccnz .LBB5_8
; %bb.15:                               ;   in Loop: Header=BB5_9 Depth=1
	s_load_b64 s[34:35], s[22:23], 0x0
	global_load_b32 v10, v9, s[22:23] offset:14
	s_waitcnt lgkmcnt(0)
	s_cmp_lt_u32 s12, s34
	s_cselect_b32 s2, 12, 18
	s_delay_alu instid0(SALU_CYCLE_1) | instskip(SKIP_4) | instid1(SALU_CYCLE_1)
	s_add_u32 s36, s22, s2
	s_addc_u32 s37, s23, 0
	s_mul_i32 s2, s35, s15
	global_load_u16 v12, v9, s[36:37]
	s_add_i32 s2, s2, s14
	s_mul_i32 s2, s2, s34
	s_delay_alu instid0(SALU_CYCLE_1) | instskip(SKIP_3) | instid1(VALU_DEP_2)
	s_add_i32 s2, s2, s12
	s_waitcnt vmcnt(1)
	v_and_b32_e32 v11, 0xffff, v10
	v_lshrrev_b32_e32 v10, 16, v10
	v_mad_u32_u24 v14, v8, v11, v7
	s_waitcnt vmcnt(0)
	v_mul_lo_u32 v13, v11, v12
	s_delay_alu instid0(VALU_DEP_1) | instskip(NEXT) | instid1(VALU_DEP_3)
	v_mul_lo_u32 v13, v13, v10
	v_mad_u64_u32 v[10:11], null, v14, v12, v[1:2]
	s_delay_alu instid0(VALU_DEP_2) | instskip(NEXT) | instid1(VALU_DEP_2)
	v_add_nc_u32_e32 v11, 63, v13
	v_lshrrev_b32_e32 v10, 6, v10
	s_delay_alu instid0(VALU_DEP_2) | instskip(NEXT) | instid1(VALU_DEP_1)
	v_lshrrev_b32_e32 v13, 6, v11
	v_mad_u64_u32 v[11:12], null, v13, s2, v[10:11]
	s_delay_alu instid0(VALU_DEP_1) | instskip(NEXT) | instid1(VALU_DEP_1)
	v_and_b32_e32 v12, s30, v11
	v_mad_u64_u32 v[10:11], null, v12, s9, v[6:7]
	v_mov_b32_e32 v12, 1
	v_mov_b32_e32 v13, 0
	s_delay_alu instid0(VALU_DEP_3) | instskip(NEXT) | instid1(VALU_DEP_1)
	v_ashrrev_i32_e32 v11, 31, v10
	v_lshlrev_b64 v[10:11], 3, v[10:11]
	s_delay_alu instid0(VALU_DEP_1) | instskip(NEXT) | instid1(VALU_DEP_2)
	v_add_co_u32 v10, vcc_lo, s4, v10
	v_add_co_ci_u32_e32 v11, vcc_lo, s5, v11, vcc_lo
	global_atomic_add_u64 v[10:11], v[12:13], off
	s_branch .LBB5_8
.LBB5_16:
	s_or_b32 exec_lo, exec_lo, s25
	s_delay_alu instid0(SALU_CYCLE_1)
	s_and_not1_b32 vcc_lo, exec_lo, s3
	s_cbranch_vccnz .LBB5_26
; %bb.17:
	s_cmp_eq_u32 s11, 0x7ffffffe
	s_cselect_b32 s2, -1, 0
	s_cmp_eq_u32 0, -1
	s_cselect_b32 s3, -1, 0
	s_delay_alu instid0(SALU_CYCLE_1) | instskip(NEXT) | instid1(SALU_CYCLE_1)
	s_or_b32 s2, s3, s2
	s_and_b32 vcc_lo, exec_lo, s2
	s_cbranch_vccnz .LBB5_26
; %bb.18:
	s_load_b64 s[2:3], s[0:1], 0x60
	v_mov_b32_e32 v2, 0
	s_add_u32 s13, s0, 0x60
	s_addc_u32 s16, s1, 0
	global_load_b32 v4, v2, s[0:1] offset:110
	s_waitcnt lgkmcnt(0)
	s_cmp_lt_u32 s12, s2
	s_cselect_b32 s0, 12, 18
	s_delay_alu instid0(SALU_CYCLE_1)
	s_add_u32 s0, s13, s0
	s_addc_u32 s1, s16, 0
	global_load_u16 v5, v2, s[0:1]
	v_bfe_u32 v2, v0, 20, 10
	v_bfe_u32 v0, v0, 10, 10
	s_waitcnt vmcnt(0)
	s_waitcnt_vscnt null, 0x0
	s_barrier
	buffer_gl0_inv
	s_mov_b32 s0, exec_lo
	v_and_b32_e32 v6, 0xffff, v4
	s_delay_alu instid0(VALU_DEP_1) | instskip(SKIP_1) | instid1(VALU_DEP_2)
	v_mul_lo_u32 v3, v6, v5
	v_mul_u32_u24_e32 v0, v0, v5
	v_mul_lo_u32 v2, v3, v2
	s_delay_alu instid0(VALU_DEP_1) | instskip(NEXT) | instid1(VALU_DEP_1)
	v_add3_u32 v2, v0, v1, v2
	v_cmpx_gt_i32_e64 s8, v2
	s_cbranch_execz .LBB5_26
; %bb.19:
	v_mul_lo_u32 v0, s24, v5
	v_lshrrev_b32_e32 v1, 16, v4
	v_mul_lo_u32 v4, s24, v2
	s_mul_i32 s0, s3, s15
	s_delay_alu instid0(SALU_CYCLE_1) | instskip(NEXT) | instid1(VALU_DEP_2)
	s_add_i32 s0, s0, s14
	v_mul_lo_u32 v3, v3, v1
	s_mul_i32 s0, s0, s2
	s_delay_alu instid0(VALU_DEP_4) | instskip(SKIP_1) | instid1(VALU_DEP_3)
	v_mul_lo_u32 v0, v0, v6
	s_add_i32 s1, s0, s12
	v_lshlrev_b32_e32 v4, 3, v4
	s_cmp_gt_i32 s24, 0
	s_cselect_b32 s0, -1, 0
	s_add_i32 s2, s10, -1
	s_delay_alu instid0(VALU_DEP_1) | instskip(NEXT) | instid1(VALU_DEP_3)
	v_add3_u32 v4, 0, s11, v4
	v_mul_lo_u32 v0, v0, v1
	s_and_b32 s2, s1, s2
	s_mov_b32 s1, 0
	s_mul_i32 s2, s2, s9
	s_delay_alu instid0(VALU_DEP_1)
	v_lshlrev_b32_e32 v5, 3, v0
	s_set_inst_prefetch_distance 0x1
	s_branch .LBB5_21
	.p2align	6
.LBB5_20:                               ;   in Loop: Header=BB5_21 Depth=1
	s_or_b32 exec_lo, exec_lo, s3
	v_add_nc_u32_e32 v2, v2, v3
	v_add_nc_u32_e32 v4, v4, v5
	s_delay_alu instid0(VALU_DEP_2) | instskip(SKIP_1) | instid1(SALU_CYCLE_1)
	v_cmp_le_i32_e32 vcc_lo, s8, v2
	s_or_b32 s1, vcc_lo, s1
	s_and_not1_b32 exec_lo, exec_lo, s1
	s_cbranch_execz .LBB5_26
.LBB5_21:                               ; =>This Loop Header: Depth=1
                                        ;     Child Loop BB5_23 Depth 2
	v_dual_mov_b32 v0, s6 :: v_dual_mov_b32 v1, s7
	s_and_not1_b32 vcc_lo, exec_lo, s0
	s_cbranch_vccnz .LBB5_24
; %bb.22:                               ;   in Loop: Header=BB5_21 Depth=1
	v_dual_mov_b32 v0, s6 :: v_dual_mov_b32 v1, s7
	v_mov_b32_e32 v6, v4
	s_mov_b32 s3, s24
.LBB5_23:                               ;   Parent Loop BB5_21 Depth=1
                                        ; =>  This Inner Loop Header: Depth=2
	ds_load_b64 v[7:8], v6
	v_add_nc_u32_e32 v6, 8, v6
	s_add_i32 s3, s3, -1
	s_delay_alu instid0(SALU_CYCLE_1)
	s_cmp_eq_u32 s3, 0
	s_waitcnt lgkmcnt(0)
	v_add_co_u32 v0, vcc_lo, v7, v0
	v_add_co_ci_u32_e32 v1, vcc_lo, v8, v1, vcc_lo
	s_cbranch_scc0 .LBB5_23
.LBB5_24:                               ;   in Loop: Header=BB5_21 Depth=1
	s_mov_b32 s3, exec_lo
	s_delay_alu instid0(VALU_DEP_1)
	v_cmpx_ne_u64_e64 s[6:7], v[0:1]
	s_cbranch_execz .LBB5_20
; %bb.25:                               ;   in Loop: Header=BB5_21 Depth=1
	v_add_nc_u32_e32 v6, s2, v2
	s_delay_alu instid0(VALU_DEP_1) | instskip(NEXT) | instid1(VALU_DEP_1)
	v_ashrrev_i32_e32 v7, 31, v6
	v_lshlrev_b64 v[6:7], 3, v[6:7]
	s_delay_alu instid0(VALU_DEP_1) | instskip(NEXT) | instid1(VALU_DEP_2)
	v_add_co_u32 v6, vcc_lo, s4, v6
	v_add_co_ci_u32_e32 v7, vcc_lo, s5, v7, vcc_lo
	global_atomic_add_u64 v[6:7], v[0:1], off
	s_branch .LBB5_20
.LBB5_26:
	s_set_inst_prefetch_distance 0x2
	s_nop 0
	s_sendmsg sendmsg(MSG_DEALLOC_VGPRS)
	s_endpgm
	.section	.rodata,"a",@progbits
	.p2align	6, 0x0
	.amdhsa_kernel _ZN4RAJA6policy3hip4impl18forallp_hip_kernelINS1_8hip_execINS_17iteration_mapping11StridedLoopILm0EEENS_3hip11IndexGlobalILNS_9named_dimE0ELi256ELi0EEENS8_40AvoidDeviceMaxThreadOccupancyConcretizerINS8_34FractionOffsetOccupancyConcretizerINS_8FractionImLm1ELm1EEELln1EEEEELb1EEENS_9Iterators16numeric_iteratorIllPlEEZN8rajaperf9algorithm9HISTOGRAM26runHipVariantAtomicRuntimeILl256ELl32ELl4ENSN_11gpu_mapping40global_loop_occupancy_grid_stride_helperEEEvNSN_9VariantIDEEUllE_lNS_4expt15ForallParamPackIJEEES7_SB_TnNSt9enable_ifIXaaaasr3std10is_base_ofINS5_15StridedLoopBaseET4_EE5valuesr3std10is_base_ofINS5_15UnsizedLoopBaseES10_EE5valuegtsrT5_10block_sizeLi0EEmE4typeELm256EEEvT1_T0_T2_T3_
		.amdhsa_group_segment_fixed_size 0
		.amdhsa_private_segment_fixed_size 0
		.amdhsa_kernarg_size 352
		.amdhsa_user_sgpr_count 13
		.amdhsa_user_sgpr_dispatch_ptr 0
		.amdhsa_user_sgpr_queue_ptr 0
		.amdhsa_user_sgpr_kernarg_segment_ptr 1
		.amdhsa_user_sgpr_dispatch_id 0
		.amdhsa_user_sgpr_private_segment_size 0
		.amdhsa_wavefront_size32 1
		.amdhsa_uses_dynamic_stack 0
		.amdhsa_enable_private_segment 0
		.amdhsa_system_sgpr_workgroup_id_x 1
		.amdhsa_system_sgpr_workgroup_id_y 1
		.amdhsa_system_sgpr_workgroup_id_z 1
		.amdhsa_system_sgpr_workgroup_info 0
		.amdhsa_system_vgpr_workitem_id 2
		.amdhsa_next_free_vgpr 15
		.amdhsa_next_free_sgpr 40
		.amdhsa_reserve_vcc 1
		.amdhsa_float_round_mode_32 0
		.amdhsa_float_round_mode_16_64 0
		.amdhsa_float_denorm_mode_32 3
		.amdhsa_float_denorm_mode_16_64 3
		.amdhsa_dx10_clamp 1
		.amdhsa_ieee_mode 1
		.amdhsa_fp16_overflow 0
		.amdhsa_workgroup_processor_mode 1
		.amdhsa_memory_ordered 1
		.amdhsa_forward_progress 0
		.amdhsa_shared_vgpr_count 0
		.amdhsa_exception_fp_ieee_invalid_op 0
		.amdhsa_exception_fp_denorm_src 0
		.amdhsa_exception_fp_ieee_div_zero 0
		.amdhsa_exception_fp_ieee_overflow 0
		.amdhsa_exception_fp_ieee_underflow 0
		.amdhsa_exception_fp_ieee_inexact 0
		.amdhsa_exception_int_div_zero 0
	.end_amdhsa_kernel
	.section	.text._ZN4RAJA6policy3hip4impl18forallp_hip_kernelINS1_8hip_execINS_17iteration_mapping11StridedLoopILm0EEENS_3hip11IndexGlobalILNS_9named_dimE0ELi256ELi0EEENS8_40AvoidDeviceMaxThreadOccupancyConcretizerINS8_34FractionOffsetOccupancyConcretizerINS_8FractionImLm1ELm1EEELln1EEEEELb1EEENS_9Iterators16numeric_iteratorIllPlEEZN8rajaperf9algorithm9HISTOGRAM26runHipVariantAtomicRuntimeILl256ELl32ELl4ENSN_11gpu_mapping40global_loop_occupancy_grid_stride_helperEEEvNSN_9VariantIDEEUllE_lNS_4expt15ForallParamPackIJEEES7_SB_TnNSt9enable_ifIXaaaasr3std10is_base_ofINS5_15StridedLoopBaseET4_EE5valuesr3std10is_base_ofINS5_15UnsizedLoopBaseES10_EE5valuegtsrT5_10block_sizeLi0EEmE4typeELm256EEEvT1_T0_T2_T3_,"axG",@progbits,_ZN4RAJA6policy3hip4impl18forallp_hip_kernelINS1_8hip_execINS_17iteration_mapping11StridedLoopILm0EEENS_3hip11IndexGlobalILNS_9named_dimE0ELi256ELi0EEENS8_40AvoidDeviceMaxThreadOccupancyConcretizerINS8_34FractionOffsetOccupancyConcretizerINS_8FractionImLm1ELm1EEELln1EEEEELb1EEENS_9Iterators16numeric_iteratorIllPlEEZN8rajaperf9algorithm9HISTOGRAM26runHipVariantAtomicRuntimeILl256ELl32ELl4ENSN_11gpu_mapping40global_loop_occupancy_grid_stride_helperEEEvNSN_9VariantIDEEUllE_lNS_4expt15ForallParamPackIJEEES7_SB_TnNSt9enable_ifIXaaaasr3std10is_base_ofINS5_15StridedLoopBaseET4_EE5valuesr3std10is_base_ofINS5_15UnsizedLoopBaseES10_EE5valuegtsrT5_10block_sizeLi0EEmE4typeELm256EEEvT1_T0_T2_T3_,comdat
.Lfunc_end5:
	.size	_ZN4RAJA6policy3hip4impl18forallp_hip_kernelINS1_8hip_execINS_17iteration_mapping11StridedLoopILm0EEENS_3hip11IndexGlobalILNS_9named_dimE0ELi256ELi0EEENS8_40AvoidDeviceMaxThreadOccupancyConcretizerINS8_34FractionOffsetOccupancyConcretizerINS_8FractionImLm1ELm1EEELln1EEEEELb1EEENS_9Iterators16numeric_iteratorIllPlEEZN8rajaperf9algorithm9HISTOGRAM26runHipVariantAtomicRuntimeILl256ELl32ELl4ENSN_11gpu_mapping40global_loop_occupancy_grid_stride_helperEEEvNSN_9VariantIDEEUllE_lNS_4expt15ForallParamPackIJEEES7_SB_TnNSt9enable_ifIXaaaasr3std10is_base_ofINS5_15StridedLoopBaseET4_EE5valuesr3std10is_base_ofINS5_15UnsizedLoopBaseES10_EE5valuegtsrT5_10block_sizeLi0EEmE4typeELm256EEEvT1_T0_T2_T3_, .Lfunc_end5-_ZN4RAJA6policy3hip4impl18forallp_hip_kernelINS1_8hip_execINS_17iteration_mapping11StridedLoopILm0EEENS_3hip11IndexGlobalILNS_9named_dimE0ELi256ELi0EEENS8_40AvoidDeviceMaxThreadOccupancyConcretizerINS8_34FractionOffsetOccupancyConcretizerINS_8FractionImLm1ELm1EEELln1EEEEELb1EEENS_9Iterators16numeric_iteratorIllPlEEZN8rajaperf9algorithm9HISTOGRAM26runHipVariantAtomicRuntimeILl256ELl32ELl4ENSN_11gpu_mapping40global_loop_occupancy_grid_stride_helperEEEvNSN_9VariantIDEEUllE_lNS_4expt15ForallParamPackIJEEES7_SB_TnNSt9enable_ifIXaaaasr3std10is_base_ofINS5_15StridedLoopBaseET4_EE5valuesr3std10is_base_ofINS5_15UnsizedLoopBaseES10_EE5valuegtsrT5_10block_sizeLi0EEmE4typeELm256EEEvT1_T0_T2_T3_
                                        ; -- End function
	.section	.AMDGPU.csdata,"",@progbits
; Kernel info:
; codeLenInByte = 1480
; NumSgprs: 42
; NumVgprs: 15
; ScratchSize: 0
; MemoryBound: 0
; FloatMode: 240
; IeeeMode: 1
; LDSByteSize: 0 bytes/workgroup (compile time only)
; SGPRBlocks: 5
; VGPRBlocks: 1
; NumSGPRsForWavesPerEU: 42
; NumVGPRsForWavesPerEU: 15
; Occupancy: 16
; WaveLimiterHint : 1
; COMPUTE_PGM_RSRC2:SCRATCH_EN: 0
; COMPUTE_PGM_RSRC2:USER_SGPR: 13
; COMPUTE_PGM_RSRC2:TRAP_HANDLER: 0
; COMPUTE_PGM_RSRC2:TGID_X_EN: 1
; COMPUTE_PGM_RSRC2:TGID_Y_EN: 1
; COMPUTE_PGM_RSRC2:TGID_Z_EN: 1
; COMPUTE_PGM_RSRC2:TIDIG_COMP_CNT: 2
	.text
	.p2alignl 7, 3214868480
	.fill 96, 4, 3214868480
	.type	__hip_cuid_82281a7a660d3b86,@object ; @__hip_cuid_82281a7a660d3b86
	.section	.bss,"aw",@nobits
	.globl	__hip_cuid_82281a7a660d3b86
__hip_cuid_82281a7a660d3b86:
	.byte	0                               ; 0x0
	.size	__hip_cuid_82281a7a660d3b86, 1

	.ident	"AMD clang version 19.0.0git (https://github.com/RadeonOpenCompute/llvm-project roc-6.4.0 25133 c7fe45cf4b819c5991fe208aaa96edf142730f1d)"
	.section	".note.GNU-stack","",@progbits
	.addrsig
	.addrsig_sym _ZN7rocprim6detail15block_histogramE
	.addrsig_sym _ZN8rajaperf9algorithm13shared_countsE
	.addrsig_sym _ZN4RAJA3hip10shared_memE
	.addrsig_sym __hip_cuid_82281a7a660d3b86
	.amdgpu_metadata
---
amdhsa.kernels:
  - .args:
      - .address_space:  global
        .offset:         0
        .size:           8
        .value_kind:     global_buffer
      - .offset:         8
        .size:           4
        .value_kind:     by_value
    .group_segment_fixed_size: 0
    .kernarg_segment_align: 8
    .kernarg_segment_size: 12
    .language:       OpenCL C
    .language_version:
      - 2
      - 0
    .max_flat_workgroup_size: 256
    .name:           _ZN7rocprim6detail21init_histogram_kernelINS0_24wrapped_histogram_configINS_14default_configElLj1ELj1EEELj1EyEEvNS0_11fixed_arrayIPT1_XT0_EEENS5_IjXT0_EEE
    .private_segment_fixed_size: 0
    .sgpr_count:     18
    .sgpr_spill_count: 0
    .symbol:         _ZN7rocprim6detail21init_histogram_kernelINS0_24wrapped_histogram_configINS_14default_configElLj1ELj1EEELj1EyEEvNS0_11fixed_arrayIPT1_XT0_EEENS5_IjXT0_EEE.kd
    .uniform_work_group_size: 1
    .uses_dynamic_stack: false
    .vgpr_count:     4
    .vgpr_spill_count: 0
    .wavefront_size: 32
    .workgroup_processor_mode: 1
  - .args:
      - .address_space:  global
        .offset:         0
        .size:           8
        .value_kind:     global_buffer
      - .offset:         8
        .size:           4
        .value_kind:     by_value
      - .offset:         12
        .size:           4
        .value_kind:     by_value
      - .offset:         16
        .size:           4
        .value_kind:     by_value
      - .offset:         20
        .size:           4
        .value_kind:     by_value
      - .offset:         24
        .size:           4
        .value_kind:     by_value
      - .address_space:  global
        .offset:         32
        .size:           8
        .value_kind:     global_buffer
      - .offset:         40
        .size:           32
        .value_kind:     by_value
      - .offset:         72
        .size:           4
        .value_kind:     by_value
      - .offset:         80
        .size:           4
        .value_kind:     hidden_block_count_x
      - .offset:         84
        .size:           4
        .value_kind:     hidden_block_count_y
      - .offset:         88
        .size:           4
        .value_kind:     hidden_block_count_z
      - .offset:         92
        .size:           2
        .value_kind:     hidden_group_size_x
      - .offset:         94
        .size:           2
        .value_kind:     hidden_group_size_y
      - .offset:         96
        .size:           2
        .value_kind:     hidden_group_size_z
      - .offset:         98
        .size:           2
        .value_kind:     hidden_remainder_x
      - .offset:         100
        .size:           2
        .value_kind:     hidden_remainder_y
      - .offset:         102
        .size:           2
        .value_kind:     hidden_remainder_z
      - .offset:         120
        .size:           8
        .value_kind:     hidden_global_offset_x
      - .offset:         128
        .size:           8
        .value_kind:     hidden_global_offset_y
      - .offset:         136
        .size:           8
        .value_kind:     hidden_global_offset_z
      - .offset:         144
        .size:           2
        .value_kind:     hidden_grid_dims
      - .offset:         200
        .size:           4
        .value_kind:     hidden_dynamic_lds_size
    .group_segment_fixed_size: 0
    .kernarg_segment_align: 8
    .kernarg_segment_size: 336
    .language:       OpenCL C
    .language_version:
      - 2
      - 0
    .max_flat_workgroup_size: 256
    .name:           _ZN7rocprim6detail23histogram_shared_kernelINS0_24wrapped_histogram_configINS_14default_configElLj1ELj1EEELj1ELj1EPlyNS0_18sample_to_bin_evenIlvEEEEvT2_jjjjjNS0_11fixed_arrayIPT3_XT1_EEENS9_IT4_XT1_EEENS9_IjXT1_EEE
    .private_segment_fixed_size: 0
    .sgpr_count:     39
    .sgpr_spill_count: 0
    .symbol:         _ZN7rocprim6detail23histogram_shared_kernelINS0_24wrapped_histogram_configINS_14default_configElLj1ELj1EEELj1ELj1EPlyNS0_18sample_to_bin_evenIlvEEEEvT2_jjjjjNS0_11fixed_arrayIPT3_XT1_EEENS9_IT4_XT1_EEENS9_IjXT1_EEE.kd
    .uniform_work_group_size: 1
    .uses_dynamic_stack: false
    .vgpr_count:     36
    .vgpr_spill_count: 0
    .wavefront_size: 32
    .workgroup_processor_mode: 1
  - .args:
      - .address_space:  global
        .offset:         0
        .size:           8
        .value_kind:     global_buffer
      - .offset:         8
        .size:           4
        .value_kind:     by_value
      - .offset:         12
        .size:           4
        .value_kind:     by_value
      - .address_space:  global
        .offset:         16
        .size:           8
        .value_kind:     global_buffer
      - .offset:         24
        .size:           32
        .value_kind:     by_value
      - .offset:         56
        .size:           4
        .value_kind:     by_value
    .group_segment_fixed_size: 0
    .kernarg_segment_align: 8
    .kernarg_segment_size: 60
    .language:       OpenCL C
    .language_version:
      - 2
      - 0
    .max_flat_workgroup_size: 256
    .name:           _ZN7rocprim6detail23histogram_global_kernelINS0_24wrapped_histogram_configINS_14default_configElLj1ELj1EEELj1ELj1EPlyNS0_18sample_to_bin_evenIlvEEEEvT2_jjNS0_11fixed_arrayIPT3_XT1_EEENS9_IT4_XT1_EEENS9_IjXT1_EEE
    .private_segment_fixed_size: 0
    .sgpr_count:     20
    .sgpr_spill_count: 0
    .symbol:         _ZN7rocprim6detail23histogram_global_kernelINS0_24wrapped_histogram_configINS_14default_configElLj1ELj1EEELj1ELj1EPlyNS0_18sample_to_bin_evenIlvEEEEvT2_jjNS0_11fixed_arrayIPT3_XT1_EEENS9_IT4_XT1_EEENS9_IjXT1_EEE.kd
    .uniform_work_group_size: 1
    .uses_dynamic_stack: false
    .vgpr_count:     19
    .vgpr_spill_count: 0
    .wavefront_size: 32
    .workgroup_processor_mode: 1
  - .args:
      - .address_space:  global
        .offset:         0
        .size:           8
        .value_kind:     global_buffer
      - .address_space:  global
        .offset:         8
        .size:           8
        .value_kind:     global_buffer
      - .offset:         16
        .size:           8
        .value_kind:     by_value
      - .offset:         24
        .size:           8
        .value_kind:     by_value
      - .offset:         32
        .size:           8
        .value_kind:     by_value
      - .offset:         40
        .size:           8
        .value_kind:     by_value
      - .offset:         48
        .size:           4
        .value_kind:     hidden_block_count_x
      - .offset:         52
        .size:           4
        .value_kind:     hidden_block_count_y
      - .offset:         56
        .size:           4
        .value_kind:     hidden_block_count_z
      - .offset:         60
        .size:           2
        .value_kind:     hidden_group_size_x
      - .offset:         62
        .size:           2
        .value_kind:     hidden_group_size_y
      - .offset:         64
        .size:           2
        .value_kind:     hidden_group_size_z
      - .offset:         66
        .size:           2
        .value_kind:     hidden_remainder_x
      - .offset:         68
        .size:           2
        .value_kind:     hidden_remainder_y
      - .offset:         70
        .size:           2
        .value_kind:     hidden_remainder_z
      - .offset:         88
        .size:           8
        .value_kind:     hidden_global_offset_x
      - .offset:         96
        .size:           8
        .value_kind:     hidden_global_offset_y
      - .offset:         104
        .size:           8
        .value_kind:     hidden_global_offset_z
      - .offset:         112
        .size:           2
        .value_kind:     hidden_grid_dims
      - .offset:         168
        .size:           4
        .value_kind:     hidden_dynamic_lds_size
    .group_segment_fixed_size: 0
    .kernarg_segment_align: 8
    .kernarg_segment_size: 304
    .language:       OpenCL C
    .language_version:
      - 2
      - 0
    .max_flat_workgroup_size: 256
    .name:           _ZN8rajaperf9algorithm24histogram_atomic_runtimeILl256EEEvPyPlllll
    .private_segment_fixed_size: 0
    .sgpr_count:     25
    .sgpr_spill_count: 0
    .symbol:         _ZN8rajaperf9algorithm24histogram_atomic_runtimeILl256EEEvPyPlllll.kd
    .uniform_work_group_size: 1
    .uses_dynamic_stack: false
    .vgpr_count:     19
    .vgpr_spill_count: 0
    .wavefront_size: 32
    .workgroup_processor_mode: 1
  - .args:
      - .offset:         0
        .size:           72
        .value_kind:     by_value
      - .offset:         72
        .size:           8
        .value_kind:     by_value
      - .offset:         80
        .size:           8
        .value_kind:     by_value
      - .offset:         88
        .size:           1
        .value_kind:     by_value
      - .offset:         96
        .size:           4
        .value_kind:     hidden_block_count_x
      - .offset:         100
        .size:           4
        .value_kind:     hidden_block_count_y
      - .offset:         104
        .size:           4
        .value_kind:     hidden_block_count_z
      - .offset:         108
        .size:           2
        .value_kind:     hidden_group_size_x
      - .offset:         110
        .size:           2
        .value_kind:     hidden_group_size_y
      - .offset:         112
        .size:           2
        .value_kind:     hidden_group_size_z
      - .offset:         114
        .size:           2
        .value_kind:     hidden_remainder_x
      - .offset:         116
        .size:           2
        .value_kind:     hidden_remainder_y
      - .offset:         118
        .size:           2
        .value_kind:     hidden_remainder_z
      - .offset:         136
        .size:           8
        .value_kind:     hidden_global_offset_x
      - .offset:         144
        .size:           8
        .value_kind:     hidden_global_offset_y
      - .offset:         152
        .size:           8
        .value_kind:     hidden_global_offset_z
      - .offset:         160
        .size:           2
        .value_kind:     hidden_grid_dims
      - .offset:         216
        .size:           4
        .value_kind:     hidden_dynamic_lds_size
    .group_segment_fixed_size: 0
    .kernarg_segment_align: 8
    .kernarg_segment_size: 352
    .language:       OpenCL C
    .language_version:
      - 2
      - 0
    .max_flat_workgroup_size: 256
    .name:           _ZN4RAJA6policy3hip4impl18forallp_hip_kernelINS1_8hip_execINS_17iteration_mapping6DirectENS_3hip11IndexGlobalILNS_9named_dimE0ELi256ELi0EEENS7_40AvoidDeviceMaxThreadOccupancyConcretizerINS7_34FractionOffsetOccupancyConcretizerINS_8FractionImLm1ELm1EEELln1EEEEELb1EEENS_9Iterators16numeric_iteratorIllPlEEZN8rajaperf9algorithm9HISTOGRAM26runHipVariantAtomicRuntimeILl256ELl32ELl4ENSM_11gpu_mapping20global_direct_helperEEEvNSM_9VariantIDEEUllE_lNS_4expt15ForallParamPackIJEEES6_SA_TnNSt9enable_ifIXaasr3std10is_base_ofINS5_10DirectBaseET4_EE5valuegtsrT5_10block_sizeLi0EEmE4typeELm256EEEvT1_T0_T2_T3_
    .private_segment_fixed_size: 0
    .sgpr_count:     28
    .sgpr_spill_count: 0
    .symbol:         _ZN4RAJA6policy3hip4impl18forallp_hip_kernelINS1_8hip_execINS_17iteration_mapping6DirectENS_3hip11IndexGlobalILNS_9named_dimE0ELi256ELi0EEENS7_40AvoidDeviceMaxThreadOccupancyConcretizerINS7_34FractionOffsetOccupancyConcretizerINS_8FractionImLm1ELm1EEELln1EEEEELb1EEENS_9Iterators16numeric_iteratorIllPlEEZN8rajaperf9algorithm9HISTOGRAM26runHipVariantAtomicRuntimeILl256ELl32ELl4ENSM_11gpu_mapping20global_direct_helperEEEvNSM_9VariantIDEEUllE_lNS_4expt15ForallParamPackIJEEES6_SA_TnNSt9enable_ifIXaasr3std10is_base_ofINS5_10DirectBaseET4_EE5valuegtsrT5_10block_sizeLi0EEmE4typeELm256EEEvT1_T0_T2_T3_.kd
    .uniform_work_group_size: 1
    .uses_dynamic_stack: false
    .vgpr_count:     9
    .vgpr_spill_count: 0
    .wavefront_size: 32
    .workgroup_processor_mode: 1
  - .args:
      - .offset:         0
        .size:           72
        .value_kind:     by_value
      - .offset:         72
        .size:           8
        .value_kind:     by_value
      - .offset:         80
        .size:           8
        .value_kind:     by_value
      - .offset:         88
        .size:           1
        .value_kind:     by_value
      - .offset:         96
        .size:           4
        .value_kind:     hidden_block_count_x
      - .offset:         100
        .size:           4
        .value_kind:     hidden_block_count_y
      - .offset:         104
        .size:           4
        .value_kind:     hidden_block_count_z
      - .offset:         108
        .size:           2
        .value_kind:     hidden_group_size_x
      - .offset:         110
        .size:           2
        .value_kind:     hidden_group_size_y
      - .offset:         112
        .size:           2
        .value_kind:     hidden_group_size_z
      - .offset:         114
        .size:           2
        .value_kind:     hidden_remainder_x
      - .offset:         116
        .size:           2
        .value_kind:     hidden_remainder_y
      - .offset:         118
        .size:           2
        .value_kind:     hidden_remainder_z
      - .offset:         136
        .size:           8
        .value_kind:     hidden_global_offset_x
      - .offset:         144
        .size:           8
        .value_kind:     hidden_global_offset_y
      - .offset:         152
        .size:           8
        .value_kind:     hidden_global_offset_z
      - .offset:         160
        .size:           2
        .value_kind:     hidden_grid_dims
      - .offset:         216
        .size:           4
        .value_kind:     hidden_dynamic_lds_size
    .group_segment_fixed_size: 0
    .kernarg_segment_align: 8
    .kernarg_segment_size: 352
    .language:       OpenCL C
    .language_version:
      - 2
      - 0
    .max_flat_workgroup_size: 256
    .name:           _ZN4RAJA6policy3hip4impl18forallp_hip_kernelINS1_8hip_execINS_17iteration_mapping11StridedLoopILm0EEENS_3hip11IndexGlobalILNS_9named_dimE0ELi256ELi0EEENS8_40AvoidDeviceMaxThreadOccupancyConcretizerINS8_34FractionOffsetOccupancyConcretizerINS_8FractionImLm1ELm1EEELln1EEEEELb1EEENS_9Iterators16numeric_iteratorIllPlEEZN8rajaperf9algorithm9HISTOGRAM26runHipVariantAtomicRuntimeILl256ELl32ELl4ENSN_11gpu_mapping40global_loop_occupancy_grid_stride_helperEEEvNSN_9VariantIDEEUllE_lNS_4expt15ForallParamPackIJEEES7_SB_TnNSt9enable_ifIXaaaasr3std10is_base_ofINS5_15StridedLoopBaseET4_EE5valuesr3std10is_base_ofINS5_15UnsizedLoopBaseES10_EE5valuegtsrT5_10block_sizeLi0EEmE4typeELm256EEEvT1_T0_T2_T3_
    .private_segment_fixed_size: 0
    .sgpr_count:     42
    .sgpr_spill_count: 0
    .symbol:         _ZN4RAJA6policy3hip4impl18forallp_hip_kernelINS1_8hip_execINS_17iteration_mapping11StridedLoopILm0EEENS_3hip11IndexGlobalILNS_9named_dimE0ELi256ELi0EEENS8_40AvoidDeviceMaxThreadOccupancyConcretizerINS8_34FractionOffsetOccupancyConcretizerINS_8FractionImLm1ELm1EEELln1EEEEELb1EEENS_9Iterators16numeric_iteratorIllPlEEZN8rajaperf9algorithm9HISTOGRAM26runHipVariantAtomicRuntimeILl256ELl32ELl4ENSN_11gpu_mapping40global_loop_occupancy_grid_stride_helperEEEvNSN_9VariantIDEEUllE_lNS_4expt15ForallParamPackIJEEES7_SB_TnNSt9enable_ifIXaaaasr3std10is_base_ofINS5_15StridedLoopBaseET4_EE5valuesr3std10is_base_ofINS5_15UnsizedLoopBaseES10_EE5valuegtsrT5_10block_sizeLi0EEmE4typeELm256EEEvT1_T0_T2_T3_.kd
    .uniform_work_group_size: 1
    .uses_dynamic_stack: false
    .vgpr_count:     15
    .vgpr_spill_count: 0
    .wavefront_size: 32
    .workgroup_processor_mode: 1
amdhsa.target:   amdgcn-amd-amdhsa--gfx1100
amdhsa.version:
  - 1
  - 2
...

	.end_amdgpu_metadata
